;; amdgpu-corpus repo=ROCm/rocFFT kind=compiled arch=gfx1030 opt=O3
	.text
	.amdgcn_target "amdgcn-amd-amdhsa--gfx1030"
	.amdhsa_code_object_version 6
	.protected	bluestein_single_back_len1848_dim1_dp_op_CI_CI ; -- Begin function bluestein_single_back_len1848_dim1_dp_op_CI_CI
	.globl	bluestein_single_back_len1848_dim1_dp_op_CI_CI
	.p2align	8
	.type	bluestein_single_back_len1848_dim1_dp_op_CI_CI,@function
bluestein_single_back_len1848_dim1_dp_op_CI_CI: ; @bluestein_single_back_len1848_dim1_dp_op_CI_CI
; %bb.0:
	s_load_dwordx4 s[8:11], s[4:5], 0x28
	v_mul_u32_u24_e32 v1, 0x11c, v0
	s_mov_b64 s[42:43], s[2:3]
	s_mov_b64 s[40:41], s[0:1]
	v_mov_b32_e32 v11, 0
	s_add_u32 s40, s40, s7
	v_lshrrev_b32_e32 v1, 16, v1
	s_addc_u32 s41, s41, 0
	s_mov_b32 s0, exec_lo
	v_add_nc_u32_e32 v10, s6, v1
	s_waitcnt lgkmcnt(0)
	v_cmpx_gt_u64_e64 s[8:9], v[10:11]
	s_cbranch_execz .LBB0_31
; %bb.1:
	s_clause 0x1
	s_load_dwordx4 s[0:3], s[4:5], 0x18
	s_load_dwordx2 s[6:7], s[4:5], 0x0
	v_mul_lo_u16 v1, 0xe7, v1
	v_mov_b32_e32 v11, v10
	v_sub_nc_u16 v50, v0, v1
	v_and_b32_e32 v64, 0xffff, v50
	v_lshlrev_b32_e32 v255, 4, v64
	s_waitcnt lgkmcnt(0)
	s_load_dwordx4 s[12:15], s[0:1], 0x0
	v_add_co_u32 v196, s0, s6, v255
	v_add_co_ci_u32_e64 v221, null, s7, 0, s0
	global_load_dwordx4 v[51:54], v255, s[6:7]
	v_add_co_u32 v0, vcc_lo, 0x2000, v196
	v_add_co_ci_u32_e32 v1, vcc_lo, 0, v221, vcc_lo
	v_add_co_u32 v4, vcc_lo, 0x4800, v196
	v_add_co_ci_u32_e32 v5, vcc_lo, 0, v221, vcc_lo
	buffer_store_dword v11, off, s[40:43], 0 offset:52 ; 4-byte Folded Spill
	buffer_store_dword v12, off, s[40:43], 0 offset:56 ; 4-byte Folded Spill
	v_add_co_u32 v8, vcc_lo, 0x800, v196
	global_load_dwordx4 v[59:62], v[0:1], off offset:1664
	v_add_co_ci_u32_e32 v9, vcc_lo, 0, v221, vcc_lo
	s_waitcnt lgkmcnt(0)
	v_mad_u64_u32 v[2:3], null, s14, v10, 0
	v_mad_u64_u32 v[6:7], null, s12, v64, 0
	v_add_co_u32 v22, vcc_lo, 0x3000, v196
	v_add_co_ci_u32_e32 v23, vcc_lo, 0, v221, vcc_lo
	v_mad_u64_u32 v[10:11], null, s15, v10, v[3:4]
	v_mad_u64_u32 v[0:1], null, s13, v64, v[7:8]
	v_add_co_u32 v24, vcc_lo, 0x5800, v196
	v_add_co_ci_u32_e32 v25, vcc_lo, 0, v221, vcc_lo
	v_mov_b32_e32 v3, v10
	s_mul_i32 s1, s13, 0x268
	v_mov_b32_e32 v7, v0
	s_mul_hi_u32 s7, s12, 0x268
	s_mul_i32 s0, s12, 0x268
	v_lshlrev_b64 v[0:1], 4, v[2:3]
	s_mul_hi_u32 s9, s12, 0xfffffc17
	v_lshlrev_b64 v[2:3], 4, v[6:7]
	s_add_i32 s1, s7, s1
	s_mul_i32 s8, s13, 0xfffffc17
	s_mul_i32 s6, s12, 0xfffffc17
	v_add_co_u32 v0, vcc_lo, s10, v0
	v_add_co_ci_u32_e32 v1, vcc_lo, s11, v1, vcc_lo
	s_sub_i32 s7, s9, s12
	v_add_co_u32 v0, vcc_lo, v0, v2
	v_add_co_ci_u32_e32 v1, vcc_lo, v1, v3, vcc_lo
	s_lshl_b64 s[12:13], s[0:1], 4
	s_add_i32 s7, s7, s8
	v_add_co_u32 v6, vcc_lo, v0, s12
	v_add_co_ci_u32_e32 v7, vcc_lo, s13, v1, vcc_lo
	s_lshl_b64 s[0:1], s[6:7], 4
	v_add_co_u32 v10, vcc_lo, v6, s12
	v_add_co_ci_u32_e32 v11, vcc_lo, s13, v7, vcc_lo
	s_clause 0x1
	global_load_dwordx4 v[65:68], v[4:5], off offset:1280
	global_load_dwordx4 v[55:58], v[8:9], off offset:1648
	v_add_co_u32 v14, vcc_lo, v10, s0
	v_add_co_ci_u32_e32 v15, vcc_lo, s1, v11, vcc_lo
	s_clause 0x1
	global_load_dwordx4 v[2:5], v[0:1], off
	global_load_dwordx4 v[6:9], v[6:7], off
	v_add_co_u32 v18, vcc_lo, v14, s12
	v_add_co_ci_u32_e32 v19, vcc_lo, s13, v15, vcc_lo
	global_load_dwordx4 v[10:13], v[10:11], off
	v_add_co_u32 v0, vcc_lo, v18, s12
	v_add_co_ci_u32_e32 v1, vcc_lo, s13, v19, vcc_lo
	s_clause 0x1
	global_load_dwordx4 v[14:17], v[14:15], off
	global_load_dwordx4 v[18:21], v[18:19], off
	s_clause 0x1
	global_load_dwordx4 v[69:72], v[22:23], off offset:1264
	global_load_dwordx4 v[73:76], v[24:25], off offset:880
	global_load_dwordx4 v[22:25], v[0:1], off
	v_cmp_gt_u16_e32 vcc_lo, 0x9a, v50
	s_waitcnt vmcnt(7)
	v_mul_f64 v[26:27], v[4:5], v[53:54]
	s_waitcnt vmcnt(6)
	v_mul_f64 v[30:31], v[8:9], v[61:62]
	v_mul_f64 v[28:29], v[2:3], v[53:54]
	;; [unrolled: 1-line block ×3, first 2 shown]
	s_waitcnt vmcnt(5)
	v_mul_f64 v[34:35], v[12:13], v[67:68]
	s_waitcnt vmcnt(4)
	v_mul_f64 v[38:39], v[16:17], v[57:58]
	v_mul_f64 v[36:37], v[10:11], v[67:68]
	s_waitcnt vmcnt(2)
	v_mul_f64 v[42:43], v[20:21], v[71:72]
	;; [unrolled: 3-line block ×3, first 2 shown]
	v_mul_f64 v[44:45], v[18:19], v[71:72]
	v_mul_f64 v[48:49], v[22:23], v[75:76]
	v_fma_f64 v[2:3], v[2:3], v[51:52], v[26:27]
	buffer_store_dword v51, off, s[40:43], 0 offset:60 ; 4-byte Folded Spill
	buffer_store_dword v52, off, s[40:43], 0 offset:64 ; 4-byte Folded Spill
	buffer_store_dword v53, off, s[40:43], 0 offset:68 ; 4-byte Folded Spill
	buffer_store_dword v54, off, s[40:43], 0 offset:72 ; 4-byte Folded Spill
	v_fma_f64 v[6:7], v[6:7], v[59:60], v[30:31]
	buffer_store_dword v59, off, s[40:43], 0 offset:92 ; 4-byte Folded Spill
	buffer_store_dword v60, off, s[40:43], 0 offset:96 ; 4-byte Folded Spill
	buffer_store_dword v61, off, s[40:43], 0 offset:100 ; 4-byte Folded Spill
	buffer_store_dword v62, off, s[40:43], 0 offset:104 ; 4-byte Folded Spill
	;; [unrolled: 5-line block ×6, first 2 shown]
	s_load_dwordx2 s[6:7], s[4:5], 0x38
	s_load_dwordx4 s[8:11], s[2:3], 0x0
	v_fma_f64 v[4:5], v[4:5], v[51:52], -v[28:29]
	v_fma_f64 v[8:9], v[8:9], v[59:60], -v[32:33]
	ds_write_b128 v255, v[2:5]
	ds_write_b128 v255, v[6:9] offset:9856
	v_fma_f64 v[12:13], v[12:13], v[65:66], -v[36:37]
	v_fma_f64 v[16:17], v[16:17], v[55:56], -v[40:41]
	;; [unrolled: 1-line block ×4, first 2 shown]
	ds_write_b128 v255, v[10:13] offset:19712
	ds_write_b128 v255, v[14:17] offset:3696
	;; [unrolled: 1-line block ×4, first 2 shown]
	s_and_saveexec_b32 s2, vcc_lo
	s_cbranch_execz .LBB0_3
; %bb.2:
	v_add_co_u32 v4, s0, v0, s0
	v_add_co_ci_u32_e64 v5, s0, s1, v1, s0
	v_add_co_u32 v6, s0, 0x1800, v196
	v_add_co_ci_u32_e64 v7, s0, 0, v221, s0
	;; [unrolled: 2-line block ×5, first 2 shown]
	v_add_co_u32 v20, s0, v8, s12
	global_load_dwordx4 v[0:3], v[4:5], off
	v_add_co_ci_u32_e64 v21, s0, s13, v9, s0
	global_load_dwordx4 v[4:7], v[6:7], off offset:1248
	global_load_dwordx4 v[8:11], v[8:9], off
	s_clause 0x1
	global_load_dwordx4 v[12:15], v[12:13], off offset:864
	global_load_dwordx4 v[16:19], v[16:17], off offset:480
	global_load_dwordx4 v[20:23], v[20:21], off
	s_waitcnt vmcnt(4)
	v_mul_f64 v[24:25], v[2:3], v[6:7]
	v_mul_f64 v[6:7], v[0:1], v[6:7]
	s_waitcnt vmcnt(2)
	v_mul_f64 v[26:27], v[10:11], v[14:15]
	v_mul_f64 v[14:15], v[8:9], v[14:15]
	;; [unrolled: 3-line block ×3, first 2 shown]
	v_fma_f64 v[0:1], v[0:1], v[4:5], v[24:25]
	v_fma_f64 v[2:3], v[2:3], v[4:5], -v[6:7]
	v_fma_f64 v[4:5], v[8:9], v[12:13], v[26:27]
	v_fma_f64 v[6:7], v[10:11], v[12:13], -v[14:15]
	;; [unrolled: 2-line block ×3, first 2 shown]
	ds_write_b128 v255, v[0:3] offset:7392
	ds_write_b128 v255, v[4:7] offset:17248
	;; [unrolled: 1-line block ×3, first 2 shown]
.LBB0_3:
	s_or_b32 exec_lo, exec_lo, s2
	s_waitcnt lgkmcnt(0)
	s_waitcnt_vscnt null, 0x0
	s_barrier
	buffer_gl0_inv
	ds_read_b128 v[36:39], v255
	ds_read_b128 v[32:35], v255 offset:3696
	ds_read_b128 v[48:51], v255 offset:9856
	ds_read_b128 v[40:43], v255 offset:13552
	ds_read_b128 v[24:27], v255 offset:19712
	ds_read_b128 v[28:31], v255 offset:23408
                                        ; implicit-def: $vgpr52_vgpr53
                                        ; implicit-def: $vgpr56_vgpr57
                                        ; implicit-def: $vgpr44_vgpr45
	s_and_saveexec_b32 s0, vcc_lo
	s_cbranch_execz .LBB0_5
; %bb.4:
	ds_read_b128 v[44:47], v255 offset:7392
	ds_read_b128 v[52:55], v255 offset:17248
	;; [unrolled: 1-line block ×3, first 2 shown]
.LBB0_5:
	s_or_b32 exec_lo, exec_lo, s0
	s_waitcnt lgkmcnt(1)
	v_add_f64 v[0:1], v[48:49], v[24:25]
	v_add_f64 v[2:3], v[50:51], v[26:27]
	s_waitcnt lgkmcnt(0)
	v_add_f64 v[4:5], v[40:41], v[28:29]
	v_add_f64 v[6:7], v[42:43], v[30:31]
	v_add_f64 v[8:9], v[52:53], v[56:57]
	v_add_f64 v[10:11], v[54:55], v[58:59]
	v_add_f64 v[12:13], v[36:37], v[48:49]
	v_add_f64 v[14:15], v[50:51], -v[26:27]
	v_add_f64 v[16:17], v[38:39], v[50:51]
	v_add_f64 v[18:19], v[32:33], v[40:41]
	;; [unrolled: 1-line block ×5, first 2 shown]
	v_add_f64 v[60:61], v[48:49], -v[24:25]
	v_add_f64 v[42:43], v[42:43], -v[30:31]
	v_add_f64 v[62:63], v[40:41], -v[28:29]
	v_add_f64 v[54:55], v[54:55], -v[58:59]
	v_add_f64 v[52:53], v[52:53], -v[56:57]
	s_mov_b32 s0, 0xe8584caa
	s_mov_b32 s1, 0x3febb67a
	;; [unrolled: 1-line block ×4, first 2 shown]
	v_fma_f64 v[0:1], v[0:1], -0.5, v[36:37]
	v_fma_f64 v[2:3], v[2:3], -0.5, v[38:39]
	v_fma_f64 v[4:5], v[4:5], -0.5, v[32:33]
	v_fma_f64 v[6:7], v[6:7], -0.5, v[34:35]
	v_fma_f64 v[8:9], v[8:9], -0.5, v[44:45]
	v_fma_f64 v[10:11], v[10:11], -0.5, v[46:47]
	v_add_f64 v[24:25], v[12:13], v[24:25]
	v_add_co_u32 v222, null, 0xe7, v64
	v_add_f64 v[26:27], v[16:17], v[26:27]
	v_add_f64 v[32:33], v[18:19], v[28:29]
	;; [unrolled: 1-line block ×5, first 2 shown]
	v_mul_u32_u24_e32 v226, 3, v64
	s_barrier
	buffer_gl0_inv
	v_lshlrev_b32_e32 v225, 4, v226
	v_fma_f64 v[56:57], v[14:15], s[0:1], v[0:1]
	v_fma_f64 v[48:49], v[14:15], s[2:3], v[0:1]
	;; [unrolled: 1-line block ×12, first 2 shown]
	s_load_dwordx2 s[2:3], s[4:5], 0x8
	v_add_co_u32 v0, null, 0x1ce, v64
	v_mul_u32_u24_e32 v1, 3, v222
	v_mul_u32_u24_e32 v224, 3, v0
	v_lshlrev_b32_e32 v223, 4, v1
	ds_write_b128 v225, v[24:27]
	ds_write_b128 v225, v[56:59] offset:16
	ds_write_b128 v225, v[48:51] offset:32
	ds_write_b128 v223, v[32:35]
	ds_write_b128 v223, v[44:47] offset:16
	ds_write_b128 v223, v[40:43] offset:32
	s_and_saveexec_b32 s0, vcc_lo
	s_cbranch_execz .LBB0_7
; %bb.6:
	v_lshlrev_b32_e32 v0, 4, v224
	ds_write_b128 v0, v[36:39]
	ds_write_b128 v0, v[28:31] offset:16
	ds_write_b128 v0, v[88:91] offset:32
.LBB0_7:
	s_or_b32 exec_lo, exec_lo, s0
	v_cmp_gt_u16_e64 s0, 0xa8, v64
	s_waitcnt lgkmcnt(0)
	s_barrier
	buffer_gl0_inv
                                        ; implicit-def: $vgpr72_vgpr73
                                        ; implicit-def: $vgpr60_vgpr61
	s_and_saveexec_b32 s1, s0
	s_cbranch_execz .LBB0_9
; %bb.8:
	ds_read_b128 v[24:27], v255
	ds_read_b128 v[56:59], v255 offset:2688
	ds_read_b128 v[48:51], v255 offset:5376
	;; [unrolled: 1-line block ×10, first 2 shown]
.LBB0_9:
	s_or_b32 exec_lo, exec_lo, s1
	v_and_b32_e32 v227, 0xff, v64
	buffer_store_dword v64, off, s[40:43], 0 ; 4-byte Folded Spill
	s_mov_b32 s20, 0xf8bb580b
	s_mov_b32 s21, 0xbfe14ced
	;; [unrolled: 1-line block ×3, first 2 shown]
	v_mul_lo_u16 v0, 0xab, v227
	s_mov_b32 s22, 0x8eee2c13
	s_mov_b32 s5, 0x3feaeb8c
	;; [unrolled: 1-line block ×4, first 2 shown]
	v_lshrrev_b16 v0, 9, v0
	s_mov_b32 s13, 0x3fda9628
	s_mov_b32 s16, 0x43842ef
	;; [unrolled: 1-line block ×4, first 2 shown]
	buffer_store_dword v0, off, s[40:43], 0 offset:156 ; 4-byte Folded Spill
	v_mul_lo_u16 v0, v0, 3
	s_mov_b32 s15, 0xbfc2375f
	s_mov_b32 s24, 0xbb3a28a1
	;; [unrolled: 1-line block ×4, first 2 shown]
	v_sub_nc_u16 v0, v64, v0
	s_mov_b32 s19, 0xbfe4f49e
	s_mov_b32 s38, 0xfd768dbf
	;; [unrolled: 1-line block ×4, first 2 shown]
	v_and_b32_e32 v0, 0xff, v0
	s_mov_b32 s36, s38
	s_mov_b32 s26, 0x9bcd5057
	;; [unrolled: 1-line block ×4, first 2 shown]
	buffer_store_dword v0, off, s[40:43], 0 offset:160 ; 4-byte Folded Spill
	v_mul_u32_u24_e32 v0, 10, v0
	s_mov_b32 s34, s16
	s_mov_b32 s31, 0x3fe14ced
	;; [unrolled: 1-line block ×4, first 2 shown]
	v_lshlrev_b32_e32 v10, 4, v0
	s_mov_b32 s28, s22
	s_clause 0x4
	global_load_dwordx4 v[52:55], v10, s[2:3]
	global_load_dwordx4 v[80:83], v10, s[2:3] offset:144
	global_load_dwordx4 v[64:67], v10, s[2:3] offset:16
	;; [unrolled: 1-line block ×4, first 2 shown]
	s_waitcnt vmcnt(4) lgkmcnt(9)
	v_mul_f64 v[0:1], v[56:57], v[54:55]
	s_waitcnt vmcnt(3) lgkmcnt(0)
	v_mul_f64 v[4:5], v[60:61], v[82:83]
	v_mul_f64 v[6:7], v[62:63], v[82:83]
	;; [unrolled: 1-line block ×3, first 2 shown]
	s_waitcnt vmcnt(2)
	v_mul_f64 v[8:9], v[48:49], v[66:67]
	v_fma_f64 v[128:129], v[58:59], v[52:53], v[0:1]
	v_fma_f64 v[94:95], v[62:63], v[80:81], v[4:5]
	v_fma_f64 v[92:93], v[60:61], v[80:81], -v[6:7]
	global_load_dwordx4 v[60:63], v10, s[2:3] offset:32
	v_mul_f64 v[0:1], v[50:51], v[66:67]
	v_fma_f64 v[110:111], v[56:57], v[52:53], -v[2:3]
	v_fma_f64 v[102:103], v[50:51], v[64:65], v[8:9]
	s_waitcnt vmcnt(2)
	v_mul_f64 v[2:3], v[72:73], v[70:71]
	v_add_f64 v[6:7], v[128:129], -v[94:95]
	v_add_f64 v[16:17], v[128:129], v[94:95]
	v_fma_f64 v[100:101], v[48:49], v[64:65], -v[0:1]
	s_clause 0x1
	global_load_dwordx4 v[56:59], v10, s[2:3] offset:64
	global_load_dwordx4 v[48:51], v10, s[2:3] offset:80
	v_mul_f64 v[0:1], v[74:75], v[70:71]
	v_fma_f64 v[98:99], v[74:75], v[68:69], v[2:3]
	v_add_f64 v[4:5], v[110:111], v[92:93]
	v_add_f64 v[20:21], v[110:111], -v[92:93]
	v_mul_f64 v[8:9], v[6:7], s[20:21]
	v_mul_f64 v[22:23], v[6:7], s[22:23]
	;; [unrolled: 1-line block ×4, first 2 shown]
	v_fma_f64 v[96:97], v[72:73], v[68:69], -v[0:1]
	s_clause 0x1
	global_load_dwordx4 v[84:87], v10, s[2:3] offset:112
	global_load_dwordx4 v[72:75], v10, s[2:3] offset:96
	v_add_f64 v[136:137], v[102:103], -v[98:99]
	v_mul_f64 v[18:19], v[20:21], s[20:21]
	v_add_f64 v[144:145], v[102:103], v[98:99]
	v_mul_f64 v[211:212], v[20:21], s[22:23]
	v_mul_f64 v[215:216], v[20:21], s[16:17]
	;; [unrolled: 1-line block ×3, first 2 shown]
	s_waitcnt vmcnt(0)
	s_waitcnt_vscnt null, 0x0
	s_barrier
	buffer_gl0_inv
	v_add_f64 v[134:135], v[100:101], v[96:97]
	v_add_f64 v[148:149], v[100:101], -v[96:97]
	v_mul_f64 v[156:157], v[136:137], s[22:23]
	v_mul_f64 v[180:181], v[136:137], s[24:25]
	;; [unrolled: 1-line block ×5, first 2 shown]
	v_fma_f64 v[2:3], v[134:135], s[12:13], v[156:157]
	v_mul_f64 v[186:187], v[148:149], s[24:25]
	v_mul_f64 v[209:210], v[148:149], s[34:35]
	v_fma_f64 v[10:11], v[144:145], s[12:13], -v[160:161]
	v_mul_f64 v[0:1], v[34:35], v[62:63]
	v_fma_f64 v[104:105], v[32:33], v[60:61], -v[0:1]
	v_mul_f64 v[0:1], v[32:33], v[62:63]
	v_fma_f64 v[108:109], v[34:35], v[60:61], v[0:1]
	v_mul_f64 v[0:1], v[46:47], v[78:79]
	v_fma_f64 v[106:107], v[44:45], v[76:77], -v[0:1]
	v_mul_f64 v[0:1], v[44:45], v[78:79]
	v_fma_f64 v[44:45], v[46:47], v[76:77], v[0:1]
	;; [unrolled: 4-line block ×3, first 2 shown]
	v_mul_f64 v[0:1], v[38:39], v[50:51]
	v_fma_f64 v[40:41], v[36:37], v[48:49], -v[0:1]
	v_mul_f64 v[0:1], v[36:37], v[50:51]
	v_add_f64 v[192:193], v[46:47], -v[40:41]
	v_fma_f64 v[36:37], v[38:39], v[48:49], v[0:1]
	v_mul_f64 v[0:1], v[88:89], v[86:87]
	v_mul_f64 v[201:202], v[192:193], s[36:37]
	v_add_f64 v[140:141], v[42:43], v[36:37]
	v_fma_f64 v[32:33], v[90:91], v[84:85], v[0:1]
	v_mul_f64 v[0:1], v[90:91], v[86:87]
	v_add_f64 v[90:91], v[42:43], -v[36:37]
	v_mul_f64 v[152:153], v[192:193], s[30:31]
	v_mul_f64 v[172:173], v[192:193], s[24:25]
	;; [unrolled: 1-line block ×3, first 2 shown]
	v_add_f64 v[138:139], v[108:109], -v[32:33]
	v_fma_f64 v[34:35], v[88:89], v[84:85], -v[0:1]
	v_mul_f64 v[0:1], v[30:31], v[74:75]
	v_add_f64 v[142:143], v[108:109], v[32:33]
	v_mul_f64 v[197:198], v[90:91], s[36:37]
	v_mul_f64 v[150:151], v[90:91], s[30:31]
	;; [unrolled: 1-line block ×4, first 2 shown]
	v_add_f64 v[132:133], v[104:105], v[34:35]
	v_fma_f64 v[38:39], v[28:29], v[72:73], -v[0:1]
	v_mul_f64 v[0:1], v[28:29], v[74:75]
	v_add_f64 v[154:155], v[104:105], -v[34:35]
	v_mul_f64 v[174:175], v[138:139], s[38:39]
	v_mul_f64 v[199:200], v[138:139], s[28:29]
	v_add_f64 v[88:89], v[106:107], v[38:39]
	v_fma_f64 v[28:29], v[30:31], v[72:73], v[0:1]
	v_fma_f64 v[0:1], v[4:5], s[4:5], v[8:9]
	v_mul_f64 v[166:167], v[154:155], s[16:17]
	v_add_f64 v[170:171], v[106:107], -v[38:39]
	v_add_f64 v[30:31], v[46:47], v[40:41]
	v_mul_f64 v[176:177], v[154:155], s[38:39]
	v_mul_f64 v[203:204], v[154:155], s[28:29]
	v_add_f64 v[130:131], v[44:45], -v[28:29]
	v_add_f64 v[0:1], v[24:25], v[0:1]
	v_add_f64 v[146:147], v[44:45], v[28:29]
	v_mul_f64 v[182:183], v[170:171], s[24:25]
	v_mul_f64 v[168:169], v[170:171], s[34:35]
	;; [unrolled: 1-line block ×5, first 2 shown]
	v_add_f64 v[0:1], v[2:3], v[0:1]
	v_fma_f64 v[2:3], v[16:17], s[4:5], -v[18:19]
	v_mul_f64 v[158:159], v[130:131], s[34:35]
	v_mul_f64 v[184:185], v[130:131], s[20:21]
	v_add_f64 v[2:3], v[26:27], v[2:3]
	v_add_f64 v[2:3], v[10:11], v[2:3]
	v_fma_f64 v[10:11], v[132:133], s[14:15], v[164:165]
	v_add_f64 v[0:1], v[10:11], v[0:1]
	v_fma_f64 v[10:11], v[142:143], s[14:15], -v[166:167]
	v_add_f64 v[2:3], v[10:11], v[2:3]
	v_fma_f64 v[10:11], v[88:89], s[18:19], v[178:179]
	v_add_f64 v[0:1], v[10:11], v[0:1]
	v_fma_f64 v[10:11], v[146:147], s[18:19], -v[182:183]
	;; [unrolled: 4-line block ×3, first 2 shown]
	v_fma_f64 v[10:11], v[144:145], s[18:19], -v[186:187]
	v_add_f64 v[118:119], v[0:1], v[2:3]
	v_fma_f64 v[0:1], v[4:5], s[12:13], v[22:23]
	v_fma_f64 v[2:3], v[134:135], s[18:19], v[180:181]
	v_add_f64 v[0:1], v[24:25], v[0:1]
	v_add_f64 v[0:1], v[2:3], v[0:1]
	v_fma_f64 v[2:3], v[16:17], s[12:13], -v[211:212]
	v_add_f64 v[2:3], v[26:27], v[2:3]
	v_add_f64 v[2:3], v[10:11], v[2:3]
	v_fma_f64 v[10:11], v[132:133], s[26:27], v[174:175]
	v_add_f64 v[0:1], v[10:11], v[0:1]
	v_fma_f64 v[10:11], v[142:143], s[26:27], -v[176:177]
	v_add_f64 v[2:3], v[10:11], v[2:3]
	v_fma_f64 v[10:11], v[88:89], s[14:15], v[158:159]
	v_add_f64 v[0:1], v[10:11], v[0:1]
	v_fma_f64 v[10:11], v[146:147], s[14:15], -v[168:169]
	;; [unrolled: 4-line block ×3, first 2 shown]
	v_add_f64 v[122:123], v[0:1], v[2:3]
	v_fma_f64 v[0:1], v[4:5], s[14:15], v[213:214]
	v_fma_f64 v[2:3], v[134:135], s[26:27], v[205:206]
	v_add_f64 v[0:1], v[24:25], v[0:1]
	v_add_f64 v[0:1], v[2:3], v[0:1]
	v_fma_f64 v[2:3], v[16:17], s[14:15], -v[215:216]
	v_add_f64 v[10:11], v[26:27], v[2:3]
	v_mul_f64 v[2:3], v[148:149], s[38:39]
	v_fma_f64 v[12:13], v[144:145], s[26:27], -v[2:3]
	v_add_f64 v[10:11], v[12:13], v[10:11]
	v_fma_f64 v[12:13], v[132:133], s[12:13], v[199:200]
	v_add_f64 v[0:1], v[12:13], v[0:1]
	v_fma_f64 v[12:13], v[142:143], s[12:13], -v[203:204]
	v_add_f64 v[10:11], v[12:13], v[10:11]
	v_fma_f64 v[12:13], v[88:89], s[4:5], v[184:185]
	v_add_f64 v[0:1], v[12:13], v[0:1]
	;; [unrolled: 4-line block ×3, first 2 shown]
	v_fma_f64 v[0:1], v[140:141], s[18:19], -v[172:173]
	v_fma_f64 v[12:13], v[144:145], s[14:15], -v[209:210]
	v_add_f64 v[126:127], v[0:1], v[10:11]
	v_fma_f64 v[0:1], v[4:5], s[18:19], v[217:218]
	v_fma_f64 v[10:11], v[134:135], s[14:15], v[14:15]
	v_add_f64 v[0:1], v[24:25], v[0:1]
	v_add_f64 v[0:1], v[10:11], v[0:1]
	v_fma_f64 v[10:11], v[16:17], s[18:19], -v[219:220]
	v_add_f64 v[10:11], v[26:27], v[10:11]
	v_add_f64 v[112:113], v[12:13], v[10:11]
	v_mul_f64 v[10:11], v[138:139], s[20:21]
	v_fma_f64 v[12:13], v[132:133], s[4:5], v[10:11]
	v_add_f64 v[114:115], v[12:13], v[0:1]
	v_mul_f64 v[12:13], v[154:155], s[20:21]
	v_fma_f64 v[0:1], v[142:143], s[4:5], -v[12:13]
	v_add_f64 v[112:113], v[0:1], v[112:113]
	v_mul_f64 v[0:1], v[130:131], s[36:37]
	v_fma_f64 v[188:189], v[88:89], s[26:27], v[0:1]
	v_add_f64 v[114:115], v[188:189], v[114:115]
	v_fma_f64 v[188:189], v[146:147], s[26:27], -v[207:208]
	v_add_f64 v[228:229], v[188:189], v[112:113]
	v_mul_f64 v[188:189], v[90:91], s[28:29]
	v_fma_f64 v[112:113], v[30:31], s[12:13], v[188:189]
	v_add_f64 v[112:113], v[112:113], v[114:115]
	v_fma_f64 v[114:115], v[140:141], s[12:13], -v[194:195]
	v_add_f64 v[114:115], v[114:115], v[228:229]
	s_and_saveexec_b32 s1, s0
	s_cbranch_execz .LBB0_11
; %bb.10:
	v_mul_f64 v[228:229], v[16:17], s[26:27]
	v_mul_f64 v[6:7], v[6:7], s[36:37]
	v_add_f64 v[110:111], v[24:25], v[110:111]
	v_mul_f64 v[136:137], v[136:137], s[30:31]
	v_fma_f64 v[230:231], v[20:21], s[38:39], v[228:229]
	v_fma_f64 v[20:21], v[20:21], s[36:37], v[228:229]
	v_mul_f64 v[228:229], v[16:17], s[18:19]
	v_add_f64 v[100:101], v[110:111], v[100:101]
	v_add_f64 v[20:21], v[26:27], v[20:21]
	v_add_f64 v[219:220], v[219:220], v[228:229]
	v_mul_f64 v[228:229], v[16:17], s[14:15]
	v_add_f64 v[100:101], v[100:101], v[104:105]
	v_mul_f64 v[104:105], v[142:143], s[12:13]
	v_add_f64 v[219:220], v[26:27], v[219:220]
	v_add_f64 v[215:216], v[215:216], v[228:229]
	v_mul_f64 v[228:229], v[16:17], s[12:13]
	v_mul_f64 v[16:17], v[16:17], s[4:5]
	v_add_f64 v[104:105], v[203:204], v[104:105]
	v_add_f64 v[215:216], v[26:27], v[215:216]
	;; [unrolled: 1-line block ×4, first 2 shown]
	v_mul_f64 v[18:19], v[4:5], s[4:5]
	v_add_f64 v[211:212], v[26:27], v[211:212]
	v_add_f64 v[16:17], v[26:27], v[16:17]
	v_add_f64 v[8:9], v[18:19], -v[8:9]
	v_mul_f64 v[18:19], v[4:5], s[12:13]
	v_add_f64 v[8:9], v[24:25], v[8:9]
	v_add_f64 v[18:19], v[18:19], -v[22:23]
	v_mul_f64 v[22:23], v[4:5], s[14:15]
	;; [unrolled: 3-line block ×3, first 2 shown]
	v_add_f64 v[22:23], v[24:25], v[22:23]
	v_add_f64 v[213:214], v[213:214], -v[217:218]
	v_fma_f64 v[217:218], v[4:5], s[26:27], v[6:7]
	v_fma_f64 v[4:5], v[4:5], s[26:27], -v[6:7]
	v_add_f64 v[6:7], v[26:27], v[128:129]
	v_add_f64 v[128:129], v[26:27], v[230:231]
	;; [unrolled: 1-line block ×5, first 2 shown]
	v_mul_f64 v[24:25], v[144:145], s[12:13]
	v_add_f64 v[6:7], v[6:7], v[102:103]
	v_mul_f64 v[102:103], v[140:141], s[14:15]
	v_add_f64 v[24:25], v[160:161], v[24:25]
	v_mul_f64 v[160:161], v[134:135], s[12:13]
	v_fma_f64 v[110:111], v[192:193], s[34:35], v[102:103]
	v_fma_f64 v[102:103], v[192:193], s[16:17], v[102:103]
	v_mul_f64 v[192:193], v[146:147], s[12:13]
	v_add_f64 v[6:7], v[6:7], v[108:109]
	v_mul_f64 v[108:109], v[132:133], s[26:27]
	v_add_f64 v[16:17], v[24:25], v[16:17]
	v_add_f64 v[156:157], v[160:161], -v[156:157]
	v_mul_f64 v[160:161], v[142:143], s[14:15]
	v_add_f64 v[6:7], v[6:7], v[44:45]
	v_add_f64 v[44:45], v[100:101], v[106:107]
	v_mul_f64 v[100:101], v[132:133], s[12:13]
	v_add_f64 v[108:109], v[108:109], -v[174:175]
	v_add_f64 v[8:9], v[156:157], v[8:9]
	v_add_f64 v[160:161], v[166:167], v[160:161]
	v_mul_f64 v[166:167], v[132:133], s[14:15]
	v_add_f64 v[6:7], v[6:7], v[42:43]
	v_add_f64 v[42:43], v[44:45], v[46:47]
	v_mul_f64 v[46:47], v[138:139], s[24:25]
	v_mul_f64 v[44:45], v[142:143], s[26:27]
	;; [unrolled: 1-line block ×3, first 2 shown]
	v_add_f64 v[100:101], v[100:101], -v[199:200]
	v_add_f64 v[16:17], v[160:161], v[16:17]
	v_add_f64 v[164:165], v[166:167], -v[164:165]
	v_mul_f64 v[166:167], v[146:147], s[18:19]
	v_add_f64 v[6:7], v[6:7], v[36:37]
	v_add_f64 v[36:37], v[42:43], v[40:41]
	v_fma_f64 v[106:107], v[132:133], s[18:19], v[46:47]
	v_fma_f64 v[46:47], v[132:133], s[18:19], -v[46:47]
	v_add_f64 v[44:45], v[176:177], v[44:45]
	v_add_f64 v[0:1], v[138:139], -v[0:1]
	v_mul_f64 v[138:139], v[146:147], s[14:15]
	v_mul_f64 v[40:41], v[146:147], s[4:5]
	;; [unrolled: 1-line block ×3, first 2 shown]
	v_add_f64 v[8:9], v[164:165], v[8:9]
	v_add_f64 v[166:167], v[182:183], v[166:167]
	v_mul_f64 v[182:183], v[88:89], s[18:19]
	v_add_f64 v[6:7], v[6:7], v[28:29]
	v_mul_f64 v[28:29], v[130:131], s[28:29]
	v_mul_f64 v[130:131], v[30:31], s[12:13]
	v_add_f64 v[138:139], v[168:169], v[138:139]
	v_add_f64 v[40:41], v[190:191], v[40:41]
	v_add_f64 v[42:43], v[42:43], -v[184:185]
	v_add_f64 v[16:17], v[166:167], v[16:17]
	v_add_f64 v[178:179], v[182:183], -v[178:179]
	v_mul_f64 v[182:183], v[140:141], s[26:27]
	v_add_f64 v[6:7], v[6:7], v[32:33]
	v_mul_f64 v[32:33], v[140:141], s[4:5]
	v_add_f64 v[130:131], v[130:131], -v[188:189]
	v_add_f64 v[8:9], v[178:179], v[8:9]
	v_add_f64 v[182:183], v[201:202], v[182:183]
	v_mul_f64 v[201:202], v[30:31], s[26:27]
	v_add_f64 v[32:33], v[152:153], v[32:33]
	v_add_f64 v[98:99], v[6:7], v[98:99]
	;; [unrolled: 1-line block ×3, first 2 shown]
	v_add_f64 v[197:198], v[201:202], -v[197:198]
	v_fma_f64 v[201:202], v[170:171], s[22:23], v[192:193]
	v_fma_f64 v[170:171], v[170:171], s[28:29], v[192:193]
	v_mul_f64 v[192:193], v[142:143], s[18:19]
	s_mov_b32 s23, 0x3fe82f19
	s_mov_b32 s22, s24
	v_fma_f64 v[213:214], v[154:155], s[22:23], v[192:193]
	v_fma_f64 v[154:155], v[154:155], s[24:25], v[192:193]
	v_mul_f64 v[192:193], v[144:145], s[4:5]
	v_fma_f64 v[228:229], v[148:149], s[20:21], v[192:193]
	v_fma_f64 v[148:149], v[148:149], s[30:31], v[192:193]
	v_mul_f64 v[192:193], v[144:145], s[14:15]
	v_add_f64 v[128:129], v[228:229], v[128:129]
	v_add_f64 v[20:21], v[148:149], v[20:21]
	;; [unrolled: 1-line block ×3, first 2 shown]
	v_mul_f64 v[209:210], v[134:135], s[14:15]
	v_add_f64 v[128:129], v[213:214], v[128:129]
	v_add_f64 v[20:21], v[154:155], v[20:21]
	;; [unrolled: 1-line block ×3, first 2 shown]
	v_add_f64 v[14:15], v[209:210], -v[14:15]
	v_mul_f64 v[209:210], v[144:145], s[26:27]
	v_mul_f64 v[144:145], v[144:145], s[18:19]
	v_add_f64 v[20:21], v[170:171], v[20:21]
	v_add_f64 v[14:15], v[14:15], v[26:27]
	v_add_f64 v[2:3], v[2:3], v[209:210]
	v_mul_f64 v[209:210], v[134:135], s[26:27]
	v_add_f64 v[144:145], v[186:187], v[144:145]
	v_fma_f64 v[186:187], v[134:135], s[4:5], v[136:137]
	v_fma_f64 v[136:137], v[134:135], s[4:5], -v[136:137]
	v_mul_f64 v[134:135], v[134:135], s[18:19]
	v_add_f64 v[26:27], v[36:37], v[38:39]
	v_fma_f64 v[36:37], v[88:89], s[12:13], v[28:29]
	v_fma_f64 v[28:29], v[88:89], s[12:13], -v[28:29]
	v_mul_f64 v[38:39], v[88:89], s[14:15]
	v_mul_f64 v[88:89], v[140:141], s[12:13]
	v_add_f64 v[2:3], v[2:3], v[215:216]
	v_add_f64 v[205:206], v[209:210], -v[205:206]
	v_add_f64 v[144:145], v[144:145], v[211:212]
	v_add_f64 v[4:5], v[136:137], v[4:5]
	v_add_f64 v[134:135], v[134:135], -v[180:181]
	v_mul_f64 v[180:181], v[142:143], s[4:5]
	v_add_f64 v[142:143], v[186:187], v[217:218]
	v_add_f64 v[38:39], v[38:39], -v[158:159]
	v_add_f64 v[88:89], v[194:195], v[88:89]
	v_add_f64 v[2:3], v[104:105], v[2:3]
	;; [unrolled: 1-line block ×6, first 2 shown]
	v_mul_f64 v[180:181], v[132:133], s[4:5]
	v_mul_f64 v[132:133], v[146:147], s[26:27]
	;; [unrolled: 1-line block ×3, first 2 shown]
	v_add_f64 v[106:107], v[106:107], v[142:143]
	v_add_f64 v[46:47], v[201:202], v[128:129]
	;; [unrolled: 1-line block ×4, first 2 shown]
	v_mov_b32_e32 v100, 33
	v_add_f64 v[28:29], v[28:29], v[4:5]
	v_add_f64 v[4:5], v[197:198], v[8:9]
	;; [unrolled: 1-line block ×3, first 2 shown]
	v_add_f64 v[10:11], v[180:181], -v[10:11]
	v_add_f64 v[24:25], v[44:45], v[144:145]
	v_add_f64 v[18:19], v[108:109], v[18:19]
	;; [unrolled: 1-line block ×9, first 2 shown]
	v_mul_f64 v[34:35], v[90:91], s[16:17]
	v_mul_f64 v[26:27], v[30:31], s[18:19]
	v_add_f64 v[24:25], v[138:139], v[24:25]
	v_add_f64 v[38:39], v[38:39], v[18:19]
	;; [unrolled: 1-line block ×6, first 2 shown]
	v_fma_f64 v[44:45], v[30:31], s[14:15], v[34:35]
	v_fma_f64 v[34:35], v[30:31], s[14:15], -v[34:35]
	v_mul_f64 v[30:31], v[30:31], s[4:5]
	v_add_f64 v[26:27], v[26:27], -v[162:163]
	v_add_f64 v[10:11], v[102:103], v[20:21]
	v_add_f64 v[22:23], v[32:33], v[24:25]
	;; [unrolled: 1-line block ×7, first 2 shown]
	s_clause 0x1
	buffer_load_dword v28, off, s[40:43], 0 offset:156
	buffer_load_dword v29, off, s[40:43], 0 offset:160
	v_add_f64 v[30:31], v[30:31], -v[150:151]
	v_add_f64 v[16:17], v[26:27], v[42:43]
	v_add_f64 v[26:27], v[98:99], v[94:95]
	;; [unrolled: 1-line block ×3, first 2 shown]
	s_waitcnt vmcnt(1)
	v_mul_u32_u24_sdwa v28, v28, v100 dst_sel:DWORD dst_unused:UNUSED_PAD src0_sel:WORD_0 src1_sel:DWORD
	s_waitcnt vmcnt(0)
	v_add_lshl_u32 v28, v28, v29, 4
	ds_write_b128 v28, v[112:115] offset:336
	ds_write_b128 v28, v[124:127] offset:384
	;; [unrolled: 1-line block ×9, first 2 shown]
	ds_write_b128 v28, v[24:27]
	ds_write_b128 v28, v[116:119] offset:480
.LBB0_11:
	s_or_b32 exec_lo, exec_lo, s1
	s_waitcnt lgkmcnt(0)
	s_barrier
	buffer_gl0_inv
	ds_read_b128 v[128:131], v255
	ds_read_b128 v[148:151], v255 offset:4224
	ds_read_b128 v[144:147], v255 offset:8448
	;; [unrolled: 1-line block ×6, first 2 shown]
	buffer_load_dword v0, off, s[40:43], 0  ; 4-byte Folded Reload
                                        ; implicit-def: $vgpr156_vgpr157
                                        ; implicit-def: $vgpr160_vgpr161
                                        ; implicit-def: $vgpr164_vgpr165
	s_waitcnt vmcnt(0)
	v_cmp_gt_u16_e64 s1, 33, v0
	s_and_saveexec_b32 s4, s1
	s_cbranch_execz .LBB0_13
; %bb.12:
	ds_read_b128 v[112:115], v255 offset:3696
	ds_read_b128 v[124:127], v255 offset:7920
	;; [unrolled: 1-line block ×7, first 2 shown]
.LBB0_13:
	s_or_b32 exec_lo, exec_lo, s4
	buffer_load_dword v2, off, s[40:43], 0  ; 4-byte Folded Reload
	v_mul_lo_u16 v0, 0xf9, v227
	v_mov_b32_e32 v1, 0xf83f
	s_mov_b32 s16, 0x37e14327
	s_mov_b32 s24, 0xe976ee23
	;; [unrolled: 1-line block ×3, first 2 shown]
	v_lshrrev_b16 v192, 13, v0
	v_mul_u32_u24_sdwa v0, v222, v1 dst_sel:DWORD dst_unused:UNUSED_PAD src0_sel:WORD_0 src1_sel:DWORD
	s_mov_b32 s17, 0x3fe948f6
	s_mov_b32 s25, 0xbfe11646
	;; [unrolled: 1-line block ×3, first 2 shown]
	v_mul_lo_u16 v1, v192, 33
	v_lshrrev_b32_e32 v0, 21, v0
	s_mov_b32 s14, 0xaaaaaaaa
	s_mov_b32 s22, 0x5476071b
	;; [unrolled: 1-line block ×4, first 2 shown]
	v_mul_lo_u16 v0, v0, 33
	s_mov_b32 s23, 0x3fe77f67
	s_mov_b32 s19, 0xbfe77f67
	;; [unrolled: 1-line block ×8, first 2 shown]
	s_waitcnt vmcnt(0)
	v_sub_nc_u16 v1, v2, v1
	v_sub_nc_u16 v2, v222, v0
	v_and_b32_e32 v193, 0xff, v1
	buffer_store_dword v2, off, s[40:43], 0 offset:164 ; 4-byte Folded Spill
	v_mul_lo_u16 v2, 0x60, v2
	v_mad_u64_u32 v[0:1], null, 0x60, v193, s[2:3]
	v_and_b32_e32 v2, 0xffff, v2
	s_clause 0x3
	global_load_dwordx4 v[104:107], v[0:1], off offset:480
	global_load_dwordx4 v[96:99], v[0:1], off offset:496
	;; [unrolled: 1-line block ×4, first 2 shown]
	v_add_co_u32 v2, s4, s2, v2
	v_add_co_ci_u32_e64 v3, null, s3, 0, s4
	s_clause 0x7
	global_load_dwordx4 v[108:111], v[0:1], off offset:544
	global_load_dwordx4 v[92:95], v[0:1], off offset:528
	;; [unrolled: 1-line block ×8, first 2 shown]
	s_mov_b32 s4, 0x36b3c0b5
	s_mov_b32 s5, 0x3fac98ee
	s_waitcnt vmcnt(11) lgkmcnt(5)
	v_mul_f64 v[0:1], v[150:151], v[106:107]
	v_mul_f64 v[2:3], v[148:149], v[106:107]
	s_waitcnt vmcnt(10) lgkmcnt(4)
	v_mul_f64 v[4:5], v[146:147], v[98:99]
	v_mul_f64 v[6:7], v[144:145], v[98:99]
	;; [unrolled: 3-line block ×4, first 2 shown]
	s_waitcnt vmcnt(7)
	v_mul_f64 v[16:17], v[142:143], v[110:111]
	v_mul_f64 v[18:19], v[140:141], v[110:111]
	s_waitcnt vmcnt(6)
	v_mul_f64 v[20:21], v[134:135], v[94:95]
	v_mul_f64 v[22:23], v[132:133], v[94:95]
	;; [unrolled: 3-line block ×6, first 2 shown]
	v_mul_f64 v[176:177], v[118:119], v[26:27]
	v_mul_f64 v[178:179], v[116:117], v[26:27]
	;; [unrolled: 1-line block ×4, first 2 shown]
	v_fma_f64 v[0:1], v[148:149], v[104:105], -v[0:1]
	v_fma_f64 v[2:3], v[150:151], v[104:105], v[2:3]
	v_fma_f64 v[4:5], v[144:145], v[96:97], -v[4:5]
	v_fma_f64 v[6:7], v[146:147], v[96:97], v[6:7]
	v_fma_f64 v[12:13], v[152:153], v[100:101], -v[12:13]
	v_fma_f64 v[14:15], v[154:155], v[100:101], v[14:15]
	v_fma_f64 v[16:17], v[140:141], v[108:109], -v[16:17]
	v_fma_f64 v[18:19], v[142:143], v[108:109], v[18:19]
	v_fma_f64 v[8:9], v[136:137], v[88:89], -v[8:9]
	v_fma_f64 v[10:11], v[138:139], v[88:89], v[10:11]
	v_fma_f64 v[20:21], v[132:133], v[92:93], -v[20:21]
	v_fma_f64 v[22:23], v[134:135], v[92:93], v[22:23]
	v_fma_f64 v[124:125], v[124:125], v[32:33], -v[168:169]
	v_fma_f64 v[126:127], v[126:127], v[32:33], v[170:171]
	v_fma_f64 v[132:133], v[164:165], v[40:41], -v[180:181]
	v_fma_f64 v[134:135], v[166:167], v[40:41], v[182:183]
	v_fma_f64 v[120:121], v[120:121], v[28:29], -v[172:173]
	v_fma_f64 v[122:123], v[122:123], v[28:29], v[174:175]
	v_fma_f64 v[136:137], v[160:161], v[44:45], -v[188:189]
	v_fma_f64 v[138:139], v[162:163], v[44:45], v[190:191]
	v_fma_f64 v[116:117], v[116:117], v[24:25], -v[176:177]
	v_fma_f64 v[118:119], v[118:119], v[24:25], v[178:179]
	v_fma_f64 v[140:141], v[156:157], v[36:37], -v[184:185]
	v_fma_f64 v[142:143], v[158:159], v[36:37], v[186:187]
	v_add_f64 v[144:145], v[0:1], v[12:13]
	v_add_f64 v[146:147], v[2:3], v[14:15]
	;; [unrolled: 1-line block ×4, first 2 shown]
	v_add_f64 v[0:1], v[0:1], -v[12:13]
	v_add_f64 v[2:3], v[2:3], -v[14:15]
	v_add_f64 v[12:13], v[8:9], v[20:21]
	v_add_f64 v[14:15], v[10:11], v[22:23]
	v_add_f64 v[4:5], v[4:5], -v[16:17]
	v_add_f64 v[6:7], v[6:7], -v[18:19]
	;; [unrolled: 1-line block ×4, first 2 shown]
	v_add_f64 v[16:17], v[124:125], v[132:133]
	v_add_f64 v[18:19], v[126:127], v[134:135]
	v_add_f64 v[20:21], v[124:125], -v[132:133]
	v_add_f64 v[22:23], v[126:127], -v[134:135]
	v_add_f64 v[124:125], v[120:121], v[136:137]
	v_add_f64 v[126:127], v[122:123], v[138:139]
	v_add_f64 v[120:121], v[120:121], -v[136:137]
	v_add_f64 v[122:123], v[122:123], -v[138:139]
	;; [unrolled: 4-line block ×4, first 2 shown]
	v_add_f64 v[144:145], v[144:145], -v[12:13]
	v_add_f64 v[146:147], v[146:147], -v[14:15]
	;; [unrolled: 1-line block ×4, first 2 shown]
	v_add_f64 v[152:153], v[8:9], v[4:5]
	v_add_f64 v[154:155], v[10:11], v[6:7]
	v_add_f64 v[156:157], v[8:9], -v[4:5]
	v_add_f64 v[158:159], v[10:11], -v[6:7]
	;; [unrolled: 1-line block ×4, first 2 shown]
	v_add_f64 v[160:161], v[124:125], v[16:17]
	v_add_f64 v[162:163], v[126:127], v[18:19]
	v_add_f64 v[164:165], v[124:125], -v[16:17]
	v_add_f64 v[166:167], v[126:127], -v[18:19]
	;; [unrolled: 1-line block ×6, first 2 shown]
	v_add_f64 v[168:169], v[116:117], v[120:121]
	v_add_f64 v[170:171], v[118:119], v[122:123]
	v_add_f64 v[172:173], v[116:117], -v[120:121]
	v_add_f64 v[174:175], v[118:119], -v[122:123]
	v_add_f64 v[12:13], v[12:13], v[136:137]
	v_add_f64 v[14:15], v[14:15], v[138:139]
	v_add_f64 v[120:121], v[120:121], -v[20:21]
	v_add_f64 v[122:123], v[122:123], -v[22:23]
	;; [unrolled: 1-line block ×6, first 2 shown]
	v_add_f64 v[136:137], v[152:153], v[0:1]
	v_add_f64 v[138:139], v[154:155], v[2:3]
	;; [unrolled: 1-line block ×4, first 2 shown]
	v_mul_f64 v[144:145], v[144:145], s[16:17]
	v_mul_f64 v[146:147], v[146:147], s[16:17]
	;; [unrolled: 1-line block ×6, first 2 shown]
	v_add_f64 v[20:21], v[168:169], v[20:21]
	v_add_f64 v[22:23], v[170:171], v[22:23]
	v_mul_f64 v[16:17], v[16:17], s[16:17]
	v_mul_f64 v[18:19], v[18:19], s[16:17]
	v_add_f64 v[0:1], v[128:129], v[12:13]
	v_add_f64 v[2:3], v[130:131], v[14:15]
	v_mul_f64 v[128:129], v[124:125], s[4:5]
	v_mul_f64 v[130:131], v[126:127], s[4:5]
	;; [unrolled: 1-line block ×8, first 2 shown]
	v_add_f64 v[112:113], v[112:113], v[132:133]
	v_add_f64 v[114:115], v[114:115], v[134:135]
	v_fma_f64 v[148:149], v[148:149], s[4:5], v[144:145]
	v_fma_f64 v[150:151], v[150:151], s[4:5], v[146:147]
	v_fma_f64 v[152:153], v[140:141], s[22:23], -v[152:153]
	v_fma_f64 v[154:155], v[142:143], s[22:23], -v[154:155]
	;; [unrolled: 1-line block ×4, first 2 shown]
	v_fma_f64 v[144:145], v[8:9], s[26:27], v[156:157]
	v_fma_f64 v[146:147], v[10:11], s[26:27], v[158:159]
	v_fma_f64 v[4:5], v[4:5], s[12:13], -v[156:157]
	v_fma_f64 v[6:7], v[6:7], s[12:13], -v[158:159]
	v_fma_f64 v[124:125], v[124:125], s[4:5], v[16:17]
	v_fma_f64 v[126:127], v[126:127], s[4:5], v[18:19]
	v_fma_f64 v[128:129], v[164:165], s[22:23], -v[128:129]
	v_fma_f64 v[130:131], v[166:167], s[22:23], -v[130:131]
	;; [unrolled: 4-line block ×3, first 2 shown]
	v_fma_f64 v[116:117], v[116:117], s[28:29], -v[172:173]
	v_fma_f64 v[118:119], v[118:119], s[28:29], -v[174:175]
	v_fma_f64 v[132:133], v[132:133], s[14:15], v[112:113]
	v_fma_f64 v[134:135], v[134:135], s[14:15], v[114:115]
	v_fma_f64 v[16:17], v[164:165], s[18:19], -v[16:17]
	v_fma_f64 v[18:19], v[166:167], s[18:19], -v[18:19]
	v_fma_f64 v[12:13], v[12:13], s[14:15], v[0:1]
	v_fma_f64 v[14:15], v[14:15], s[14:15], v[2:3]
	v_fma_f64 v[8:9], v[8:9], s[28:29], -v[160:161]
	v_fma_f64 v[10:11], v[10:11], s[28:29], -v[162:163]
	v_fma_f64 v[144:145], v[136:137], s[20:21], v[144:145]
	v_fma_f64 v[146:147], v[138:139], s[20:21], v[146:147]
	v_fma_f64 v[160:161], v[136:137], s[20:21], v[4:5]
	v_fma_f64 v[162:163], v[138:139], s[20:21], v[6:7]
	;; [unrolled: 1-line block ×8, first 2 shown]
	v_add_f64 v[128:129], v[128:129], v[132:133]
	v_add_f64 v[130:131], v[130:131], v[134:135]
	;; [unrolled: 1-line block ×10, first 2 shown]
	v_fma_f64 v[136:137], v[136:137], s[20:21], v[8:9]
	v_fma_f64 v[138:139], v[138:139], s[20:21], v[10:11]
	v_add_f64 v[140:141], v[140:141], v[12:13]
	v_add_f64 v[142:143], v[142:143], v[14:15]
	v_add_f64 v[156:157], v[128:129], -v[122:123]
	v_add_f64 v[158:159], v[120:121], v[130:131]
	v_add_f64 v[128:129], v[122:123], v[128:129]
	v_add_f64 v[130:131], v[130:131], -v[120:121]
	v_add_f64 v[120:121], v[172:173], -v[170:171]
	v_add_f64 v[122:123], v[168:169], v[174:175]
	buffer_store_dword v128, off, s[40:43], 0 offset:4 ; 4-byte Folded Spill
	buffer_store_dword v129, off, s[40:43], 0 offset:8 ; 4-byte Folded Spill
	;; [unrolled: 1-line block ×8, first 2 shown]
	v_add_f64 v[120:121], v[124:125], -v[166:167]
	v_add_f64 v[122:123], v[164:165], v[126:127]
	v_add_f64 v[12:13], v[152:153], -v[162:163]
	v_add_f64 v[14:15], v[160:161], v[154:155]
	v_add_f64 v[16:17], v[162:163], v[152:153]
	v_add_f64 v[18:19], v[154:155], -v[160:161]
	v_add_f64 v[160:161], v[166:167], v[124:125]
	v_add_f64 v[162:163], v[126:127], -v[164:165]
	;; [unrolled: 2-line block ×5, first 2 shown]
	v_add_f64 v[20:21], v[140:141], -v[138:139]
	v_add_f64 v[22:23], v[136:137], v[142:143]
	v_add_f64 v[116:117], v[148:149], -v[146:147]
	v_add_f64 v[118:119], v[144:145], v[150:151]
	buffer_store_dword v120, off, s[40:43], 0 offset:36 ; 4-byte Folded Spill
	buffer_store_dword v121, off, s[40:43], 0 offset:40 ; 4-byte Folded Spill
	;; [unrolled: 1-line block ×4, first 2 shown]
	v_mov_b32_e32 v120, 0xe7
	s_waitcnt_vscnt null, 0x0
	s_barrier
	buffer_gl0_inv
	v_mul_u32_u24_sdwa v120, v192, v120 dst_sel:DWORD dst_unused:UNUSED_PAD src0_sel:WORD_0 src1_sel:DWORD
	v_add_lshl_u32 v222, v120, v193, 4
	ds_write_b128 v222, v[0:3]
	ds_write_b128 v222, v[4:7] offset:528
	ds_write_b128 v222, v[8:11] offset:1056
	;; [unrolled: 1-line block ×6, first 2 shown]
	s_and_saveexec_b32 s4, s1
	s_cbranch_execz .LBB0_15
; %bb.14:
	buffer_load_dword v1, off, s[40:43], 0 offset:164 ; 4-byte Folded Reload
	v_mov_b32_e32 v0, 4
	s_waitcnt vmcnt(0)
	v_lshlrev_b32_sdwa v0, v0, v1 dst_sel:DWORD dst_unused:UNUSED_PAD src0_sel:DWORD src1_sel:WORD_0
	ds_write_b128 v0, v[112:115] offset:25872
	ds_write_b128 v0, v[160:163] offset:26400
	;; [unrolled: 1-line block ×4, first 2 shown]
	s_clause 0x3
	buffer_load_dword v1, off, s[40:43], 0 offset:4
	buffer_load_dword v2, off, s[40:43], 0 offset:8
	buffer_load_dword v3, off, s[40:43], 0 offset:12
	buffer_load_dword v4, off, s[40:43], 0 offset:16
	s_waitcnt vmcnt(0)
	ds_write_b128 v0, v[1:4] offset:27984
	s_clause 0x3
	buffer_load_dword v1, off, s[40:43], 0 offset:20
	buffer_load_dword v2, off, s[40:43], 0 offset:24
	buffer_load_dword v3, off, s[40:43], 0 offset:28
	buffer_load_dword v4, off, s[40:43], 0 offset:32
	s_waitcnt vmcnt(0)
	ds_write_b128 v0, v[1:4] offset:28512
	;; [unrolled: 7-line block ×3, first 2 shown]
.LBB0_15:
	s_or_b32 exec_lo, exec_lo, s4
	v_lshlrev_b32_e32 v0, 4, v226
	s_waitcnt lgkmcnt(0)
	s_barrier
	buffer_gl0_inv
	v_add_co_u32 v148, s2, s2, v0
	v_add_co_ci_u32_e64 v149, null, s3, 0, s2
	v_add_co_u32 v0, s2, 0x800, v148
	v_add_co_ci_u32_e64 v1, s2, 0, v149, s2
	v_add_co_u32 v2, s2, 0xe40, v148
	v_add_co_ci_u32_e64 v3, s2, 0, v149, s2
	s_clause 0x2
	global_load_dwordx4 v[112:115], v[0:1], off offset:1600
	global_load_dwordx4 v[120:123], v[2:3], off offset:16
	;; [unrolled: 1-line block ×3, first 2 shown]
	ds_read_b128 v[0:3], v255 offset:7392
	ds_read_b128 v[4:7], v255 offset:14784
	;; [unrolled: 1-line block ×6, first 2 shown]
	ds_read_b128 v[124:127], v255
	ds_read_b128 v[128:131], v255 offset:3696
	buffer_load_dword v150, off, s[40:43], 0 ; 4-byte Folded Reload
	s_waitcnt vmcnt(0) lgkmcnt(0)
	s_barrier
	buffer_gl0_inv
	v_mul_f64 v[132:133], v[2:3], v[114:115]
	v_mul_f64 v[134:135], v[0:1], v[114:115]
	;; [unrolled: 1-line block ×12, first 2 shown]
	v_fma_f64 v[0:1], v[0:1], v[112:113], -v[132:133]
	v_fma_f64 v[2:3], v[2:3], v[112:113], v[134:135]
	v_fma_f64 v[4:5], v[4:5], v[120:121], -v[136:137]
	v_fma_f64 v[6:7], v[6:7], v[120:121], v[138:139]
	;; [unrolled: 2-line block ×6, first 2 shown]
	v_add_f64 v[132:133], v[124:125], -v[4:5]
	v_add_f64 v[134:135], v[126:127], -v[6:7]
	;; [unrolled: 1-line block ×8, first 2 shown]
	v_fma_f64 v[124:125], v[124:125], 2.0, -v[132:133]
	v_fma_f64 v[126:127], v[126:127], 2.0, -v[134:135]
	;; [unrolled: 1-line block ×4, first 2 shown]
	v_add_f64 v[0:1], v[132:133], -v[6:7]
	v_add_f64 v[2:3], v[134:135], v[4:5]
	v_fma_f64 v[128:129], v[128:129], 2.0, -v[136:137]
	v_fma_f64 v[130:131], v[130:131], 2.0, -v[138:139]
	;; [unrolled: 1-line block ×4, first 2 shown]
	v_add_f64 v[4:5], v[136:137], -v[10:11]
	v_add_f64 v[6:7], v[138:139], v[8:9]
	v_add_f64 v[8:9], v[124:125], -v[16:17]
	v_add_f64 v[10:11], v[126:127], -v[18:19]
	v_lshlrev_b32_e32 v16, 5, v150
	v_fma_f64 v[18:19], v[134:135], 2.0, -v[2:3]
	v_add_f64 v[12:13], v[128:129], -v[12:13]
	v_add_f64 v[14:15], v[130:131], -v[14:15]
	v_sub_co_u32 v142, s2, v148, v16
	v_fma_f64 v[16:17], v[132:133], 2.0, -v[0:1]
	v_fma_f64 v[20:21], v[136:137], 2.0, -v[4:5]
	;; [unrolled: 1-line block ×3, first 2 shown]
	v_subrev_co_ci_u32_e64 v143, s2, 0, v149, s2
	v_add_co_u32 v132, s2, 0x3800, v142
	v_add_co_ci_u32_e64 v133, s2, 0, v143, s2
	v_add_co_u32 v134, s2, 0x4800, v142
	v_fma_f64 v[124:125], v[124:125], 2.0, -v[8:9]
	v_fma_f64 v[126:127], v[126:127], 2.0, -v[10:11]
	v_add_co_ci_u32_e64 v135, s2, 0, v143, s2
	v_add_co_u32 v140, s2, 0x5000, v142
	v_fma_f64 v[128:129], v[128:129], 2.0, -v[12:13]
	v_fma_f64 v[130:131], v[130:131], 2.0, -v[14:15]
	v_add_co_ci_u32_e64 v141, s2, 0, v143, s2
	ds_write_b128 v255, v[0:3] offset:11088
	ds_write_b128 v255, v[4:7] offset:25872
	;; [unrolled: 1-line block ×6, first 2 shown]
	ds_write_b128 v255, v[124:127]
	ds_write_b128 v255, v[128:131] offset:14784
	v_add_co_u32 v0, s2, 0x6000, v142
	s_waitcnt lgkmcnt(0)
	s_barrier
	buffer_gl0_inv
	global_load_dwordx4 v[124:127], v[132:133], off offset:400
	v_add_co_ci_u32_e64 v1, s2, 0, v143, s2
	s_clause 0x2
	global_load_dwordx4 v[136:139], v[134:135], off
	global_load_dwordx4 v[128:131], v[140:141], off offset:1648
	global_load_dwordx4 v[132:135], v[0:1], off offset:1248
	ds_read_b128 v[0:3], v255 offset:14784
	ds_read_b128 v[4:7], v255 offset:18480
	;; [unrolled: 1-line block ×4, first 2 shown]
	ds_read_b128 v[16:19], v255
	ds_read_b128 v[20:23], v255 offset:3696
	s_waitcnt vmcnt(3) lgkmcnt(5)
	v_mul_f64 v[140:141], v[2:3], v[126:127]
	v_mul_f64 v[142:143], v[0:1], v[126:127]
	s_waitcnt vmcnt(2) lgkmcnt(4)
	v_mul_f64 v[144:145], v[6:7], v[138:139]
	v_mul_f64 v[146:147], v[4:5], v[138:139]
	s_waitcnt vmcnt(1) lgkmcnt(3)
	v_mul_f64 v[164:165], v[10:11], v[130:131]
	v_mul_f64 v[166:167], v[8:9], v[130:131]
	s_waitcnt vmcnt(0) lgkmcnt(2)
	v_mul_f64 v[168:169], v[14:15], v[134:135]
	v_mul_f64 v[170:171], v[12:13], v[134:135]
	v_fma_f64 v[140:141], v[0:1], v[124:125], -v[140:141]
	v_fma_f64 v[142:143], v[2:3], v[124:125], v[142:143]
	v_fma_f64 v[144:145], v[4:5], v[136:137], -v[144:145]
	v_fma_f64 v[146:147], v[6:7], v[136:137], v[146:147]
	;; [unrolled: 2-line block ×4, first 2 shown]
	ds_read_b128 v[0:3], v255 offset:7392
	ds_read_b128 v[4:7], v255 offset:11088
	s_waitcnt lgkmcnt(3)
	v_add_f64 v[8:9], v[16:17], -v[140:141]
	v_add_f64 v[10:11], v[18:19], -v[142:143]
	s_waitcnt lgkmcnt(2)
	v_add_f64 v[12:13], v[20:21], -v[144:145]
	v_add_f64 v[14:15], v[22:23], -v[146:147]
	v_add_co_u32 v144, s2, 0x7000, v196
	s_waitcnt lgkmcnt(1)
	v_add_f64 v[140:141], v[0:1], -v[164:165]
	v_add_f64 v[142:143], v[2:3], -v[166:167]
	s_waitcnt lgkmcnt(0)
	v_add_f64 v[164:165], v[4:5], -v[168:169]
	v_add_f64 v[166:167], v[6:7], -v[170:171]
	v_add_co_ci_u32_e64 v145, s2, 0, v221, s2
	v_fma_f64 v[16:17], v[16:17], 2.0, -v[8:9]
	v_fma_f64 v[18:19], v[18:19], 2.0, -v[10:11]
	;; [unrolled: 1-line block ×8, first 2 shown]
	v_add_co_u32 v4, s2, 0x9800, v196
	v_add_co_ci_u32_e64 v5, s2, 0, v221, s2
	v_add_co_u32 v146, s2, 0xc000, v196
	v_add_co_ci_u32_e64 v147, s2, 0, v221, s2
	;; [unrolled: 2-line block ×4, first 2 shown]
	ds_write_b128 v255, v[8:11] offset:14784
	ds_write_b128 v255, v[12:15] offset:18480
	ds_write_b128 v255, v[140:143] offset:22176
	ds_write_b128 v255, v[164:167] offset:25872
	ds_write_b128 v255, v[16:19]
	ds_write_b128 v255, v[20:23] offset:3696
	ds_write_b128 v255, v[0:3] offset:7392
	;; [unrolled: 1-line block ×3, first 2 shown]
	v_add_co_u32 v20, s2, 0xc800, v196
	s_waitcnt lgkmcnt(0)
	s_barrier
	buffer_gl0_inv
	s_clause 0x2
	global_load_dwordx4 v[0:3], v[144:145], off offset:896
	global_load_dwordx4 v[4:7], v[4:5], off offset:512
	;; [unrolled: 1-line block ×3, first 2 shown]
	v_add_co_ci_u32_e64 v21, s2, 0, v221, s2
	s_clause 0x2
	global_load_dwordx4 v[12:15], v[172:173], off offset:496
	global_load_dwordx4 v[16:19], v[174:175], off offset:112
	;; [unrolled: 1-line block ×3, first 2 shown]
	ds_read_b128 v[140:143], v255
	ds_read_b128 v[144:147], v255 offset:9856
	ds_read_b128 v[172:175], v255 offset:19712
	;; [unrolled: 1-line block ×5, first 2 shown]
	s_waitcnt vmcnt(5) lgkmcnt(5)
	v_mul_f64 v[188:189], v[142:143], v[2:3]
	v_mul_f64 v[2:3], v[140:141], v[2:3]
	s_waitcnt vmcnt(4) lgkmcnt(4)
	v_mul_f64 v[190:191], v[146:147], v[6:7]
	v_mul_f64 v[6:7], v[144:145], v[6:7]
	;; [unrolled: 3-line block ×6, first 2 shown]
	v_fma_f64 v[140:141], v[140:141], v[0:1], -v[188:189]
	v_fma_f64 v[142:143], v[142:143], v[0:1], v[2:3]
	v_fma_f64 v[0:1], v[144:145], v[4:5], -v[190:191]
	v_fma_f64 v[2:3], v[146:147], v[4:5], v[6:7]
	;; [unrolled: 2-line block ×6, first 2 shown]
	ds_write_b128 v255, v[140:143]
	ds_write_b128 v255, v[0:3] offset:9856
	ds_write_b128 v255, v[4:7] offset:19712
	;; [unrolled: 1-line block ×5, first 2 shown]
	s_and_saveexec_b32 s3, vcc_lo
	s_cbranch_execz .LBB0_17
; %bb.16:
	v_add_co_u32 v2, s2, 0x7380, v196
	v_add_co_ci_u32_e64 v3, s2, 0, v221, s2
	v_add_co_u32 v0, s2, 0x1800, v2
	v_add_co_ci_u32_e64 v1, s2, 0, v3, s2
	;; [unrolled: 2-line block ×4, first 2 shown]
	s_clause 0x2
	global_load_dwordx4 v[0:3], v[0:1], off offset:1248
	global_load_dwordx4 v[4:7], v[4:5], off offset:864
	;; [unrolled: 1-line block ×3, first 2 shown]
	ds_read_b128 v[12:15], v255 offset:7392
	ds_read_b128 v[16:19], v255 offset:17248
	;; [unrolled: 1-line block ×3, first 2 shown]
	s_waitcnt vmcnt(2) lgkmcnt(2)
	v_mul_f64 v[140:141], v[14:15], v[2:3]
	v_mul_f64 v[2:3], v[12:13], v[2:3]
	s_waitcnt vmcnt(1) lgkmcnt(1)
	v_mul_f64 v[142:143], v[18:19], v[6:7]
	v_mul_f64 v[6:7], v[16:17], v[6:7]
	;; [unrolled: 3-line block ×3, first 2 shown]
	v_fma_f64 v[10:11], v[12:13], v[0:1], -v[140:141]
	v_fma_f64 v[12:13], v[14:15], v[0:1], v[2:3]
	v_fma_f64 v[0:1], v[16:17], v[4:5], -v[142:143]
	v_fma_f64 v[2:3], v[18:19], v[4:5], v[6:7]
	;; [unrolled: 2-line block ×3, first 2 shown]
	ds_write_b128 v255, v[10:13] offset:7392
	ds_write_b128 v255, v[0:3] offset:17248
	;; [unrolled: 1-line block ×3, first 2 shown]
.LBB0_17:
	s_or_b32 exec_lo, exec_lo, s3
	s_waitcnt lgkmcnt(0)
	s_barrier
	buffer_gl0_inv
	ds_read_b128 v[184:187], v255
	ds_read_b128 v[180:183], v255 offset:3696
	ds_read_b128 v[192:195], v255 offset:9856
	;; [unrolled: 1-line block ×5, first 2 shown]
	s_and_saveexec_b32 s2, vcc_lo
	s_cbranch_execz .LBB0_19
; %bb.18:
	ds_read_b128 v[168:171], v255 offset:7392
	ds_read_b128 v[164:167], v255 offset:17248
	;; [unrolled: 1-line block ×3, first 2 shown]
.LBB0_19:
	s_or_b32 exec_lo, exec_lo, s2
	s_waitcnt lgkmcnt(1)
	v_add_f64 v[0:1], v[192:193], v[176:177]
	v_add_f64 v[2:3], v[194:195], v[178:179]
	s_waitcnt lgkmcnt(0)
	v_add_f64 v[4:5], v[188:189], v[172:173]
	v_add_f64 v[6:7], v[190:191], v[174:175]
	;; [unrolled: 1-line block ×5, first 2 shown]
	v_add_f64 v[14:15], v[194:195], -v[178:179]
	v_add_f64 v[16:17], v[186:187], v[194:195]
	v_add_f64 v[18:19], v[180:181], v[188:189]
	;; [unrolled: 1-line block ×5, first 2 shown]
	v_add_f64 v[142:143], v[192:193], -v[176:177]
	v_add_f64 v[144:145], v[190:191], -v[174:175]
	;; [unrolled: 1-line block ×3, first 2 shown]
	s_mov_b32 s2, 0xe8584caa
	s_mov_b32 s3, 0xbfebb67a
	s_mov_b32 s5, 0x3febb67a
	s_mov_b32 s4, s2
	s_barrier
	v_fma_f64 v[0:1], v[0:1], -0.5, v[184:185]
	v_fma_f64 v[2:3], v[2:3], -0.5, v[186:187]
	;; [unrolled: 1-line block ×4, first 2 shown]
	v_add_f64 v[184:185], v[166:167], -v[162:163]
	v_fma_f64 v[8:9], v[8:9], -0.5, v[168:169]
	v_add_f64 v[186:187], v[164:165], -v[160:161]
	v_fma_f64 v[10:11], v[10:11], -0.5, v[170:171]
	v_add_f64 v[164:165], v[12:13], v[176:177]
	v_add_f64 v[166:167], v[16:17], v[178:179]
	;; [unrolled: 1-line block ×6, first 2 shown]
	buffer_gl0_inv
	v_fma_f64 v[192:193], v[14:15], s[2:3], v[0:1]
	v_fma_f64 v[188:189], v[14:15], s[4:5], v[0:1]
	;; [unrolled: 1-line block ×12, first 2 shown]
	ds_write_b128 v225, v[164:167]
	ds_write_b128 v225, v[192:195] offset:16
	ds_write_b128 v225, v[188:191] offset:32
	ds_write_b128 v223, v[180:183]
	ds_write_b128 v223, v[176:179] offset:16
	ds_write_b128 v223, v[168:171] offset:32
	s_and_saveexec_b32 s2, vcc_lo
	s_cbranch_execz .LBB0_21
; %bb.20:
	v_lshlrev_b32_e32 v0, 4, v224
	ds_write_b128 v0, v[160:163]
	ds_write_b128 v0, v[172:175] offset:16
	ds_write_b128 v0, v[184:187] offset:32
.LBB0_21:
	s_or_b32 exec_lo, exec_lo, s2
	s_waitcnt lgkmcnt(0)
	s_barrier
	buffer_gl0_inv
	s_and_saveexec_b32 s2, s0
	s_cbranch_execz .LBB0_23
; %bb.22:
	ds_read_b128 v[164:167], v255
	ds_read_b128 v[192:195], v255 offset:2688
	ds_read_b128 v[188:191], v255 offset:5376
	;; [unrolled: 1-line block ×10, first 2 shown]
.LBB0_23:
	s_or_b32 exec_lo, exec_lo, s2
	s_waitcnt lgkmcnt(9)
	v_mul_f64 v[0:1], v[54:55], v[192:193]
	s_waitcnt lgkmcnt(1)
	v_mul_f64 v[2:3], v[70:71], v[154:155]
	v_mul_f64 v[4:5], v[86:87], v[184:185]
	;; [unrolled: 1-line block ×4, first 2 shown]
	s_mov_b32 s4, 0xf8bb580b
	s_mov_b32 s5, 0xbfe14ced
	v_mul_f64 v[8:9], v[74:75], v[172:173]
	s_mov_b32 s2, 0x8764f0ba
	s_mov_b32 s22, 0x8eee2c13
	;; [unrolled: 1-line block ×14, first 2 shown]
	v_fma_f64 v[197:198], v[52:53], v[194:195], -v[0:1]
	v_mul_f64 v[0:1], v[54:55], v[194:195]
	v_fma_f64 v[18:19], v[68:69], v[152:153], v[2:3]
	v_mul_f64 v[2:3], v[62:63], v[182:183]
	s_mov_b32 s30, 0xfd768dbf
	s_mov_b32 s31, 0x3fd207e7
	;; [unrolled: 1-line block ×12, first 2 shown]
	v_fma_f64 v[194:195], v[52:53], v[192:193], v[0:1]
	s_waitcnt lgkmcnt(0)
	v_mul_f64 v[0:1], v[82:83], v[156:157]
	v_fma_f64 v[86:87], v[60:61], v[180:181], v[2:3]
	v_mul_f64 v[2:3], v[78:79], v[176:177]
	v_fma_f64 v[12:13], v[80:81], v[158:159], -v[0:1]
	v_mul_f64 v[0:1], v[82:83], v[158:159]
	v_fma_f64 v[158:159], v[56:57], v[170:171], -v[10:11]
	v_add_f64 v[201:202], v[197:198], -v[12:13]
	v_fma_f64 v[14:15], v[80:81], v[156:157], v[0:1]
	v_mul_f64 v[0:1], v[66:67], v[188:189]
	buffer_store_dword v12, off, s[40:43], 0 offset:168 ; 4-byte Folded Spill
	buffer_store_dword v13, off, s[40:43], 0 offset:172 ; 4-byte Folded Spill
	v_mul_f64 v[231:232], v[201:202], s[4:5]
	v_add_f64 v[215:216], v[14:15], v[194:195]
	v_fma_f64 v[82:83], v[64:65], v[190:191], -v[0:1]
	v_mul_f64 v[0:1], v[66:67], v[190:191]
	buffer_store_dword v14, off, s[40:43], 0 offset:176 ; 4-byte Folded Spill
	buffer_store_dword v15, off, s[40:43], 0 offset:180 ; 4-byte Folded Spill
	v_mul_f64 v[80:81], v[201:202], s[22:23]
	v_mul_f64 v[66:67], v[201:202], s[14:15]
	;; [unrolled: 1-line block ×3, first 2 shown]
	v_fma_f64 v[156:157], v[64:65], v[188:189], v[0:1]
	v_mul_f64 v[0:1], v[70:71], v[152:153]
	v_fma_f64 v[70:71], v[84:85], v[186:187], -v[4:5]
	v_mul_f64 v[4:5], v[74:75], v[174:175]
	v_fma_f64 v[16:17], v[68:69], v[154:155], -v[0:1]
	v_fma_f64 v[68:69], v[84:85], v[184:185], v[6:7]
	v_mul_f64 v[6:7], v[58:59], v[170:171]
	v_mul_f64 v[0:1], v[62:63], v[180:181]
	v_add_f64 v[84:85], v[82:83], -v[16:17]
	buffer_store_dword v16, off, s[40:43], 0 offset:192 ; 4-byte Folded Spill
	buffer_store_dword v17, off, s[40:43], 0 offset:196 ; 4-byte Folded Spill
	v_fma_f64 v[154:155], v[56:57], v[168:169], v[6:7]
	v_add_f64 v[168:169], v[18:19], v[156:157]
	buffer_store_dword v18, off, s[40:43], 0 offset:184 ; 4-byte Folded Spill
	buffer_store_dword v19, off, s[40:43], 0 offset:188 ; 4-byte Folded Spill
	v_fma_f64 v[152:153], v[60:61], v[182:183], -v[0:1]
	v_mul_f64 v[0:1], v[78:79], v[178:179]
	v_fma_f64 v[78:79], v[72:73], v[174:175], -v[8:9]
	v_fma_f64 v[72:73], v[72:73], v[172:173], v[4:5]
	v_fma_f64 v[4:5], v[215:216], s[2:3], -v[231:232]
	v_add_f64 v[188:189], v[86:87], -v[68:69]
	s_waitcnt_vscnt null, 0x0
	s_barrier
	buffer_gl0_inv
	v_mul_f64 v[205:206], v[84:85], s[22:23]
	v_mul_f64 v[235:236], v[84:85], s[20:21]
	v_mul_f64 v[22:23], v[84:85], s[36:37]
	v_add_f64 v[180:181], v[152:153], -v[70:71]
	v_fma_f64 v[74:75], v[76:77], v[176:177], v[0:1]
	v_fma_f64 v[76:77], v[76:77], v[178:179], -v[2:3]
	v_mul_f64 v[0:1], v[50:51], v[162:163]
	v_mul_f64 v[2:3], v[50:51], v[160:161]
	v_add_f64 v[4:5], v[164:165], v[4:5]
	v_add_f64 v[178:179], v[86:87], v[68:69]
	v_add_f64 v[207:208], v[152:153], v[70:71]
	v_mul_f64 v[211:212], v[180:181], s[14:15]
	v_add_f64 v[170:171], v[74:75], v[72:73]
	v_add_f64 v[174:175], v[76:77], -v[78:79]
	v_fma_f64 v[160:161], v[48:49], v[160:161], v[0:1]
	v_fma_f64 v[162:163], v[48:49], v[162:163], -v[2:3]
	v_fma_f64 v[0:1], v[168:169], s[16:17], -v[205:206]
	v_add_f64 v[227:228], v[76:77], v[78:79]
	v_mul_f64 v[213:214], v[207:208], s[12:13]
	v_add_f64 v[190:191], v[74:75], -v[72:73]
	v_mul_f64 v[229:230], v[180:181], s[30:31]
	v_mul_f64 v[233:234], v[207:208], s[26:27]
	;; [unrolled: 1-line block ×3, first 2 shown]
	v_add_f64 v[172:173], v[160:161], v[154:155]
	v_add_f64 v[176:177], v[158:159], -v[162:163]
	v_add_f64 v[0:1], v[0:1], v[4:5]
	v_fma_f64 v[4:5], v[178:179], s[12:13], -v[211:212]
	v_mul_f64 v[247:248], v[227:228], s[18:19]
	v_add_f64 v[253:254], v[162:163], v[158:159]
	v_add_f64 v[186:187], v[154:155], -v[160:161]
	v_mul_f64 v[219:220], v[174:175], s[36:37]
	v_mul_f64 v[146:147], v[227:228], s[12:13]
	;; [unrolled: 1-line block ×6, first 2 shown]
	v_add_f64 v[0:1], v[4:5], v[0:1]
	v_fma_f64 v[4:5], v[188:189], s[14:15], v[213:214]
	v_mul_f64 v[203:204], v[253:254], s[2:3]
	v_mul_f64 v[223:224], v[176:177], s[20:21]
	v_mul_f64 v[225:226], v[253:254], s[18:19]
	v_add_f64 v[245:246], v[12:13], v[197:198]
	v_mul_f64 v[64:65], v[245:246], s[16:17]
	v_add_f64 v[14:15], v[194:195], -v[14:15]
	v_mul_f64 v[140:141], v[245:246], s[12:13]
	v_mul_f64 v[144:145], v[245:246], s[18:19]
	v_add_f64 v[184:185], v[16:17], v[82:83]
	v_mul_f64 v[16:17], v[245:246], s[2:3]
	v_add_f64 v[182:183], v[156:157], -v[18:19]
	v_mul_f64 v[209:210], v[184:185], s[16:17]
	v_fma_f64 v[2:3], v[14:15], s[4:5], v[16:17]
	v_mul_f64 v[241:242], v[184:185], s[18:19]
	v_mul_f64 v[10:11], v[184:185], s[26:27]
	;; [unrolled: 1-line block ×3, first 2 shown]
	v_fma_f64 v[6:7], v[182:183], s[22:23], v[209:210]
	v_add_f64 v[2:3], v[166:167], v[2:3]
	v_fma_f64 v[8:9], v[182:183], s[30:31], v[10:11]
	v_add_f64 v[2:3], v[6:7], v[2:3]
	;; [unrolled: 2-line block ×3, first 2 shown]
	v_fma_f64 v[4:5], v[170:171], s[18:19], -v[217:218]
	v_add_f64 v[0:1], v[4:5], v[0:1]
	v_fma_f64 v[4:5], v[190:191], s[20:21], v[247:248]
	v_add_f64 v[4:5], v[4:5], v[2:3]
	v_fma_f64 v[2:3], v[172:173], s[26:27], -v[243:244]
	v_add_f64 v[52:53], v[2:3], v[0:1]
	v_mul_f64 v[2:3], v[253:254], s[26:27]
	v_fma_f64 v[0:1], v[186:187], s[28:29], v[2:3]
	v_add_f64 v[54:55], v[0:1], v[4:5]
	v_fma_f64 v[0:1], v[215:216], s[16:17], -v[80:81]
	v_fma_f64 v[4:5], v[168:169], s[18:19], -v[235:236]
	v_add_f64 v[0:1], v[164:165], v[0:1]
	v_add_f64 v[0:1], v[4:5], v[0:1]
	v_fma_f64 v[4:5], v[14:15], s[22:23], v[64:65]
	v_add_f64 v[4:5], v[166:167], v[4:5]
	v_add_f64 v[4:5], v[6:7], v[4:5]
	v_fma_f64 v[6:7], v[178:179], s[26:27], -v[229:230]
	v_add_f64 v[0:1], v[6:7], v[0:1]
	v_fma_f64 v[6:7], v[188:189], s[30:31], v[233:234]
	v_add_f64 v[4:5], v[6:7], v[4:5]
	v_fma_f64 v[6:7], v[170:171], s[12:13], -v[219:220]
	v_add_f64 v[0:1], v[6:7], v[0:1]
	v_fma_f64 v[6:7], v[190:191], s[36:37], v[146:147]
	v_add_f64 v[4:5], v[6:7], v[4:5]
	v_fma_f64 v[6:7], v[172:173], s[2:3], -v[199:200]
	v_add_f64 v[56:57], v[6:7], v[0:1]
	v_fma_f64 v[0:1], v[186:187], s[24:25], v[203:204]
	v_mul_f64 v[6:7], v[84:85], s[30:31]
	v_add_f64 v[58:59], v[0:1], v[4:5]
	v_fma_f64 v[0:1], v[215:216], s[12:13], -v[66:67]
	v_fma_f64 v[4:5], v[168:169], s[26:27], -v[6:7]
	v_add_f64 v[0:1], v[164:165], v[0:1]
	v_add_f64 v[4:5], v[4:5], v[0:1]
	v_fma_f64 v[0:1], v[14:15], s[14:15], v[140:141]
	v_add_f64 v[0:1], v[166:167], v[0:1]
	v_add_f64 v[8:9], v[8:9], v[0:1]
	v_mul_f64 v[0:1], v[180:181], s[34:35]
	v_fma_f64 v[12:13], v[178:179], s[16:17], -v[0:1]
	v_add_f64 v[12:13], v[12:13], v[4:5]
	v_mul_f64 v[4:5], v[207:208], s[16:17]
	v_fma_f64 v[18:19], v[188:189], s[34:35], v[4:5]
	v_add_f64 v[8:9], v[18:19], v[8:9]
	v_fma_f64 v[18:19], v[170:171], s[2:3], -v[237:238]
	v_add_f64 v[12:13], v[18:19], v[12:13]
	v_fma_f64 v[18:19], v[190:191], s[4:5], v[251:252]
	v_add_f64 v[8:9], v[18:19], v[8:9]
	v_fma_f64 v[18:19], v[172:173], s[18:19], -v[223:224]
	v_add_f64 v[60:61], v[18:19], v[12:13]
	v_fma_f64 v[12:13], v[186:187], s[20:21], v[225:226]
	v_fma_f64 v[18:19], v[182:183], s[36:37], v[192:193]
	v_add_f64 v[62:63], v[12:13], v[8:9]
	v_fma_f64 v[8:9], v[215:216], s[18:19], -v[142:143]
	v_fma_f64 v[12:13], v[168:169], s[12:13], -v[22:23]
	v_add_f64 v[8:9], v[164:165], v[8:9]
	v_add_f64 v[8:9], v[12:13], v[8:9]
	v_fma_f64 v[12:13], v[14:15], s[20:21], v[144:145]
	v_add_f64 v[12:13], v[166:167], v[12:13]
	v_add_f64 v[12:13], v[18:19], v[12:13]
	v_mul_f64 v[18:19], v[180:181], s[4:5]
	v_fma_f64 v[20:21], v[178:179], s[2:3], -v[18:19]
	v_add_f64 v[48:49], v[20:21], v[8:9]
	v_mul_f64 v[20:21], v[207:208], s[2:3]
	v_fma_f64 v[8:9], v[188:189], s[4:5], v[20:21]
	v_add_f64 v[50:51], v[8:9], v[12:13]
	v_mul_f64 v[8:9], v[174:175], s[28:29]
	v_fma_f64 v[12:13], v[170:171], s[26:27], -v[8:9]
	v_add_f64 v[48:49], v[12:13], v[48:49]
	v_mul_f64 v[12:13], v[227:228], s[26:27]
	v_fma_f64 v[239:240], v[190:191], s[28:29], v[12:13]
	;; [unrolled: 6-line block ×3, first 2 shown]
	v_add_f64 v[50:51], v[148:149], v[50:51]
	s_and_saveexec_b32 s33, s0
	s_cbranch_execz .LBB0_25
; %bb.24:
	v_mul_f64 v[148:149], v[14:15], s[28:29]
	v_mul_f64 v[201:202], v[201:202], s[28:29]
	v_add_f64 v[194:195], v[164:165], v[194:195]
	v_add_f64 v[197:198], v[166:167], v[197:198]
	v_mul_f64 v[84:85], v[84:85], s[24:25]
	v_fma_f64 v[150:151], v[245:246], s[26:27], v[148:149]
	v_fma_f64 v[148:149], v[245:246], s[26:27], -v[148:149]
	v_mul_f64 v[245:246], v[14:15], s[20:21]
	v_add_f64 v[150:151], v[166:167], v[150:151]
	v_add_f64 v[148:149], v[166:167], v[148:149]
	v_add_f64 v[144:145], v[144:145], -v[245:246]
	v_mul_f64 v[245:246], v[14:15], s[14:15]
	v_add_f64 v[144:145], v[166:167], v[144:145]
	v_add_f64 v[140:141], v[140:141], -v[245:246]
	v_mul_f64 v[245:246], v[14:15], s[22:23]
	v_mul_f64 v[14:15], v[14:15], s[4:5]
	v_add_f64 v[140:141], v[166:167], v[140:141]
	v_add_f64 v[64:65], v[64:65], -v[245:246]
	v_add_f64 v[14:15], v[16:17], -v[14:15]
	v_mul_f64 v[16:17], v[215:216], s[2:3]
	v_add_f64 v[64:65], v[166:167], v[64:65]
	v_add_f64 v[14:15], v[166:167], v[14:15]
	;; [unrolled: 1-line block ×3, first 2 shown]
	v_mul_f64 v[231:232], v[215:216], s[16:17]
	v_mul_f64 v[166:167], v[182:183], s[22:23]
	v_add_f64 v[16:17], v[164:165], v[16:17]
	v_add_f64 v[80:81], v[231:232], v[80:81]
	v_mul_f64 v[231:232], v[215:216], s[12:13]
	v_add_f64 v[166:167], v[209:210], -v[166:167]
	v_mul_f64 v[209:210], v[178:179], s[12:13]
	v_add_f64 v[80:81], v[164:165], v[80:81]
	v_add_f64 v[66:67], v[231:232], v[66:67]
	v_mul_f64 v[231:232], v[215:216], s[18:19]
	v_add_f64 v[209:210], v[209:210], v[211:212]
	v_mul_f64 v[211:212], v[190:191], s[20:21]
	v_add_f64 v[14:15], v[166:167], v[14:15]
	v_add_f64 v[66:67], v[164:165], v[66:67]
	v_add_f64 v[142:143], v[231:232], v[142:143]
	v_fma_f64 v[231:232], v[215:216], s[26:27], -v[201:202]
	v_fma_f64 v[201:202], v[215:216], s[26:27], v[201:202]
	v_add_f64 v[211:212], v[247:248], -v[211:212]
	v_add_f64 v[142:143], v[164:165], v[142:143]
	v_add_f64 v[215:216], v[164:165], v[231:232]
	;; [unrolled: 1-line block ×3, first 2 shown]
	v_mul_f64 v[201:202], v[168:169], s[16:17]
	v_add_f64 v[201:202], v[201:202], v[205:206]
	v_mul_f64 v[205:206], v[188:189], s[14:15]
	v_add_f64 v[16:17], v[201:202], v[16:17]
	v_add_f64 v[205:206], v[213:214], -v[205:206]
	v_mul_f64 v[213:214], v[170:171], s[18:19]
	v_add_f64 v[16:17], v[209:210], v[16:17]
	v_add_f64 v[14:15], v[205:206], v[14:15]
	;; [unrolled: 1-line block ×3, first 2 shown]
	v_mul_f64 v[217:218], v[186:187], s[28:29]
	v_add_f64 v[14:15], v[211:212], v[14:15]
	v_add_f64 v[16:17], v[213:214], v[16:17]
	v_add_f64 v[217:218], v[2:3], -v[217:218]
	v_mul_f64 v[2:3], v[172:173], s[26:27]
	v_add_f64 v[231:232], v[2:3], v[243:244]
	v_add_f64 v[2:3], v[82:83], v[197:198]
	v_mul_f64 v[197:198], v[190:191], s[34:35]
	v_add_f64 v[82:83], v[156:157], v[194:195]
	v_mul_f64 v[156:157], v[186:187], s[14:15]
	v_add_f64 v[2:3], v[152:153], v[2:3]
	v_fma_f64 v[243:244], v[227:228], s[16:17], v[197:198]
	v_fma_f64 v[197:198], v[227:228], s[16:17], -v[197:198]
	v_mul_f64 v[227:228], v[188:189], s[20:21]
	v_add_f64 v[82:83], v[86:87], v[82:83]
	v_mul_f64 v[86:87], v[188:189], s[34:35]
	v_mul_f64 v[152:153], v[178:179], s[26:27]
	v_fma_f64 v[194:195], v[253:254], s[12:13], v[156:157]
	v_fma_f64 v[156:157], v[253:254], s[12:13], -v[156:157]
	v_add_f64 v[2:3], v[76:77], v[2:3]
	v_mul_f64 v[76:77], v[178:179], s[16:17]
	v_fma_f64 v[245:246], v[207:208], s[18:19], v[227:228]
	v_fma_f64 v[207:208], v[207:208], s[18:19], -v[227:228]
	v_mul_f64 v[227:228], v[182:183], s[24:25]
	v_add_f64 v[4:5], v[4:5], -v[86:87]
	v_add_f64 v[74:75], v[74:75], v[82:83]
	v_mul_f64 v[82:83], v[180:181], s[20:21]
	v_add_f64 v[152:153], v[152:153], v[229:230]
	v_add_f64 v[2:3], v[158:159], v[2:3]
	;; [unrolled: 1-line block ×3, first 2 shown]
	v_mul_f64 v[76:77], v[188:189], s[30:31]
	v_mul_f64 v[158:159], v[170:171], s[2:3]
	v_fma_f64 v[247:248], v[184:185], s[2:3], v[227:228]
	v_fma_f64 v[184:185], v[184:185], s[2:3], -v[227:228]
	v_mul_f64 v[227:228], v[182:183], s[36:37]
	v_add_f64 v[74:75], v[154:155], v[74:75]
	v_mul_f64 v[154:155], v[190:191], s[28:29]
	v_fma_f64 v[86:87], v[178:179], s[18:19], -v[82:83]
	v_fma_f64 v[82:83], v[178:179], s[18:19], v[82:83]
	v_add_f64 v[2:3], v[162:163], v[2:3]
	v_add_f64 v[76:77], v[233:234], -v[76:77]
	v_add_f64 v[158:159], v[158:159], v[237:238]
	v_add_f64 v[150:151], v[247:248], v[150:151]
	;; [unrolled: 1-line block ×3, first 2 shown]
	v_add_f64 v[192:193], v[192:193], -v[227:228]
	v_mul_f64 v[227:228], v[168:169], s[12:13]
	v_add_f64 v[74:75], v[160:161], v[74:75]
	v_mul_f64 v[160:161], v[190:191], s[36:37]
	v_add_f64 v[12:13], v[12:13], -v[154:155]
	v_mul_f64 v[154:155], v[170:171], s[26:27]
	v_add_f64 v[2:3], v[78:79], v[2:3]
	v_mul_f64 v[78:79], v[172:173], s[16:17]
	v_add_f64 v[148:149], v[207:208], v[148:149]
	v_add_f64 v[144:145], v[192:193], v[144:145]
	;; [unrolled: 1-line block ×3, first 2 shown]
	v_mul_f64 v[227:228], v[182:183], s[30:31]
	v_mul_f64 v[182:183], v[182:183], s[20:21]
	v_add_f64 v[146:147], v[146:147], -v[160:161]
	v_mul_f64 v[160:161], v[174:175], s[34:35]
	v_add_f64 v[8:9], v[154:155], v[8:9]
	v_mul_f64 v[154:155], v[190:191], s[4:5]
	v_add_f64 v[72:73], v[72:73], v[74:75]
	;; [unrolled: 2-line block ×3, first 2 shown]
	v_add_f64 v[78:79], v[78:79], v[239:240]
	v_add_f64 v[22:23], v[22:23], v[142:143]
	v_add_f64 v[10:11], v[10:11], -v[227:228]
	v_mul_f64 v[227:228], v[168:169], s[26:27]
	v_add_f64 v[182:183], v[241:242], -v[182:183]
	v_add_f64 v[142:143], v[245:246], v[150:151]
	v_fma_f64 v[162:163], v[170:171], s[16:17], -v[160:161]
	v_fma_f64 v[160:161], v[170:171], s[16:17], v[160:161]
	v_mul_f64 v[170:171], v[170:171], s[12:13]
	v_add_f64 v[154:155], v[251:252], -v[154:155]
	v_add_f64 v[74:75], v[249:250], -v[74:75]
	v_mov_b32_e32 v150, 33
	v_add_f64 v[10:11], v[10:11], v[140:141]
	v_add_f64 v[6:7], v[227:228], v[6:7]
	;; [unrolled: 1-line block ×3, first 2 shown]
	v_fma_f64 v[227:228], v[168:169], s[2:3], -v[84:85]
	v_fma_f64 v[84:85], v[168:169], s[2:3], v[84:85]
	v_mul_f64 v[168:169], v[168:169], s[18:19]
	v_add_f64 v[170:171], v[170:171], v[219:220]
	v_mul_f64 v[140:141], v[172:173], s[18:19]
	v_add_f64 v[4:5], v[4:5], v[10:11]
	v_add_f64 v[6:7], v[6:7], v[66:67]
	;; [unrolled: 1-line block ×6, first 2 shown]
	v_mul_f64 v[235:236], v[188:189], s[4:5]
	v_add_f64 v[66:67], v[84:85], v[164:165]
	v_mul_f64 v[84:85], v[186:187], s[20:21]
	v_add_f64 v[140:141], v[140:141], v[223:224]
	v_add_f64 v[0:1], v[0:1], v[6:7]
	;; [unrolled: 1-line block ×4, first 2 shown]
	v_add_f64 v[20:21], v[20:21], -v[235:236]
	v_mul_f64 v[235:236], v[178:179], s[2:3]
	v_add_f64 v[84:85], v[225:226], -v[84:85]
	v_add_f64 v[142:143], v[158:159], v[0:1]
	s_clause 0x1
	buffer_load_dword v0, off, s[40:43], 0 offset:192
	buffer_load_dword v1, off, s[40:43], 0 offset:196
	v_add_f64 v[64:65], v[152:153], v[80:81]
	v_add_f64 v[20:21], v[20:21], v[144:145]
	;; [unrolled: 1-line block ×9, first 2 shown]
	v_mul_f64 v[72:73], v[172:173], s[2:3]
	v_add_f64 v[18:19], v[82:83], v[66:67]
	v_add_f64 v[20:21], v[154:155], v[4:5]
	v_mul_f64 v[66:67], v[186:187], s[24:25]
	v_mul_f64 v[68:69], v[176:177], s[14:15]
	v_add_f64 v[82:83], v[197:198], v[148:149]
	v_add_f64 v[4:5], v[231:232], v[16:17]
	v_add_f64 v[16:17], v[140:141], v[142:143]
	v_add_f64 v[8:9], v[8:9], v[6:7]
	v_add_f64 v[6:7], v[217:218], v[14:15]
	v_add_f64 v[72:73], v[72:73], v[199:200]
	v_add_f64 v[144:145], v[160:161], v[18:19]
	v_add_f64 v[18:19], v[84:85], v[20:21]
	v_add_f64 v[66:67], v[203:204], -v[66:67]
	v_fma_f64 v[70:71], v[172:173], s[12:13], -v[68:69]
	v_fma_f64 v[68:69], v[172:173], s[12:13], v[68:69]
	v_add_f64 v[14:15], v[74:75], v[12:13]
	v_add_f64 v[10:11], v[156:157], v[82:83]
	;; [unrolled: 1-line block ×5, first 2 shown]
	s_waitcnt vmcnt(0)
	v_add_f64 v[146:147], v[0:1], v[2:3]
	s_clause 0x3
	buffer_load_dword v0, off, s[40:43], 0 offset:184
	buffer_load_dword v1, off, s[40:43], 0 offset:188
	;; [unrolled: 1-line block ×4, first 2 shown]
	v_add_f64 v[2:3], v[194:195], v[76:77]
	s_waitcnt vmcnt(2)
	v_add_f64 v[148:149], v[0:1], v[22:23]
	v_add_f64 v[22:23], v[66:67], v[86:87]
	s_waitcnt vmcnt(0)
	v_add_f64 v[66:67], v[64:65], v[146:147]
	s_clause 0x2
	buffer_load_dword v64, off, s[40:43], 0 offset:176
	buffer_load_dword v65, off, s[40:43], 0 offset:180
	;; [unrolled: 1-line block ×3, first 2 shown]
	v_add_f64 v[0:1], v[70:71], v[80:81]
	s_waitcnt vmcnt(1)
	v_add_f64 v[64:65], v[64:65], v[148:149]
	s_waitcnt vmcnt(0)
	v_mul_u32_u24_sdwa v68, v68, v150 dst_sel:DWORD dst_unused:UNUSED_PAD src0_sel:WORD_0 src1_sel:DWORD
	s_clause 0x1
	buffer_load_dword v150, off, s[40:43], 0
	buffer_load_dword v69, off, s[40:43], 0 offset:160
	s_waitcnt vmcnt(0)
	v_add_lshl_u32 v68, v68, v69, 4
	ds_write_b128 v68, v[48:51] offset:336
	ds_write_b128 v68, v[60:63] offset:384
	;; [unrolled: 1-line block ×9, first 2 shown]
	ds_write_b128 v68, v[64:67]
	ds_write_b128 v68, v[52:55] offset:480
.LBB0_25:
	s_or_b32 exec_lo, exec_lo, s33
	s_waitcnt lgkmcnt(0)
	s_barrier
	buffer_gl0_inv
	ds_read_b128 v[64:67], v255
	ds_read_b128 v[84:87], v255 offset:4224
	ds_read_b128 v[80:83], v255 offset:8448
	;; [unrolled: 1-line block ×6, first 2 shown]
	s_and_saveexec_b32 s0, s1
	s_cbranch_execz .LBB0_27
; %bb.26:
	ds_read_b128 v[48:51], v255 offset:3696
	ds_read_b128 v[60:63], v255 offset:7920
	;; [unrolled: 1-line block ×5, first 2 shown]
	s_waitcnt lgkmcnt(0)
	buffer_store_dword v0, off, s[40:43], 0 offset:4 ; 4-byte Folded Spill
	buffer_store_dword v1, off, s[40:43], 0 offset:8 ; 4-byte Folded Spill
	;; [unrolled: 1-line block ×4, first 2 shown]
	ds_read_b128 v[0:3], v255 offset:24816
	s_waitcnt lgkmcnt(0)
	buffer_store_dword v0, off, s[40:43], 0 offset:20 ; 4-byte Folded Spill
	buffer_store_dword v1, off, s[40:43], 0 offset:24 ; 4-byte Folded Spill
	;; [unrolled: 1-line block ×4, first 2 shown]
	ds_read_b128 v[0:3], v255 offset:29040
	s_waitcnt lgkmcnt(0)
	buffer_store_dword v0, off, s[40:43], 0 offset:36 ; 4-byte Folded Spill
	buffer_store_dword v1, off, s[40:43], 0 offset:40 ; 4-byte Folded Spill
	;; [unrolled: 1-line block ×4, first 2 shown]
.LBB0_27:
	s_or_b32 exec_lo, exec_lo, s0
	s_waitcnt lgkmcnt(5)
	v_mul_f64 v[0:1], v[106:107], v[86:87]
	v_mul_f64 v[2:3], v[106:107], v[84:85]
	s_waitcnt lgkmcnt(4)
	v_mul_f64 v[4:5], v[98:99], v[82:83]
	v_mul_f64 v[6:7], v[98:99], v[80:81]
	;; [unrolled: 3-line block ×3, first 2 shown]
	v_mul_f64 v[12:13], v[110:111], v[78:79]
	v_mul_f64 v[14:15], v[110:111], v[76:77]
	;; [unrolled: 1-line block ×6, first 2 shown]
	s_mov_b32 s12, 0x37e14327
	s_mov_b32 s16, 0xe976ee23
	;; [unrolled: 1-line block ×10, first 2 shown]
	v_fma_f64 v[0:1], v[104:105], v[84:85], v[0:1]
	v_fma_f64 v[2:3], v[104:105], v[86:87], -v[2:3]
	v_fma_f64 v[4:5], v[96:97], v[80:81], v[4:5]
	v_fma_f64 v[6:7], v[96:97], v[82:83], -v[6:7]
	;; [unrolled: 2-line block ×6, first 2 shown]
	s_mov_b32 s15, 0xbff2aaaa
	s_mov_b32 s18, 0x5476071b
	;; [unrolled: 1-line block ×10, first 2 shown]
	s_waitcnt_vscnt null, 0x0
	s_barrier
	buffer_gl0_inv
	v_add_f64 v[68:69], v[0:1], v[8:9]
	v_add_f64 v[70:71], v[2:3], v[10:11]
	;; [unrolled: 1-line block ×4, first 2 shown]
	v_add_f64 v[4:5], v[4:5], -v[12:13]
	v_add_f64 v[6:7], v[6:7], -v[14:15]
	v_add_f64 v[12:13], v[16:17], v[20:21]
	v_add_f64 v[14:15], v[18:19], v[22:23]
	v_add_f64 v[16:17], v[20:21], -v[16:17]
	v_add_f64 v[18:19], v[22:23], -v[18:19]
	;; [unrolled: 1-line block ×4, first 2 shown]
	v_add_f64 v[0:1], v[72:73], v[68:69]
	v_add_f64 v[2:3], v[74:75], v[70:71]
	v_add_f64 v[20:21], v[68:69], -v[12:13]
	v_add_f64 v[22:23], v[70:71], -v[14:15]
	;; [unrolled: 1-line block ×6, first 2 shown]
	v_add_f64 v[4:5], v[16:17], v[4:5]
	v_add_f64 v[6:7], v[18:19], v[6:7]
	v_add_f64 v[16:17], v[8:9], -v[16:17]
	v_add_f64 v[18:19], v[10:11], -v[18:19]
	v_add_f64 v[84:85], v[12:13], v[0:1]
	v_add_f64 v[86:87], v[14:15], v[2:3]
	v_add_f64 v[12:13], v[12:13], -v[72:73]
	v_add_f64 v[14:15], v[14:15], -v[74:75]
	v_mul_f64 v[20:21], v[20:21], s[12:13]
	v_mul_f64 v[22:23], v[22:23], s[12:13]
	v_mul_f64 v[76:77], v[76:77], s[16:17]
	v_mul_f64 v[78:79], v[78:79], s[16:17]
	v_mul_f64 v[88:89], v[80:81], s[2:3]
	v_mul_f64 v[90:91], v[82:83], s[2:3]
	v_add_f64 v[4:5], v[4:5], v[8:9]
	v_add_f64 v[6:7], v[6:7], v[10:11]
	;; [unrolled: 1-line block ×4, first 2 shown]
	v_add_f64 v[64:65], v[72:73], -v[68:69]
	v_add_f64 v[66:67], v[74:75], -v[70:71]
	v_mul_f64 v[68:69], v[12:13], s[4:5]
	v_mul_f64 v[70:71], v[14:15], s[4:5]
	v_fma_f64 v[8:9], v[12:13], s[4:5], v[20:21]
	v_fma_f64 v[10:11], v[14:15], s[4:5], v[22:23]
	;; [unrolled: 1-line block ×4, first 2 shown]
	v_fma_f64 v[72:73], v[80:81], s[2:3], -v[76:77]
	v_fma_f64 v[74:75], v[82:83], s[2:3], -v[78:79]
	;; [unrolled: 1-line block ×4, first 2 shown]
	v_fma_f64 v[76:77], v[84:85], s[14:15], v[0:1]
	v_fma_f64 v[78:79], v[86:87], s[14:15], v[2:3]
	v_fma_f64 v[20:21], v[64:65], s[20:21], -v[20:21]
	v_fma_f64 v[22:23], v[66:67], s[20:21], -v[22:23]
	;; [unrolled: 1-line block ×4, first 2 shown]
	v_fma_f64 v[68:69], v[4:5], s[26:27], v[12:13]
	v_fma_f64 v[70:71], v[6:7], s[26:27], v[14:15]
	;; [unrolled: 1-line block ×6, first 2 shown]
	v_add_f64 v[84:85], v[8:9], v[76:77]
	v_add_f64 v[86:87], v[10:11], v[78:79]
	;; [unrolled: 1-line block ×7, first 2 shown]
	v_add_f64 v[6:7], v[86:87], -v[68:69]
	v_add_f64 v[8:9], v[82:83], v[20:21]
	v_add_f64 v[10:11], v[22:23], -v[80:81]
	v_add_f64 v[12:13], v[16:17], -v[74:75]
	v_add_f64 v[14:15], v[72:73], v[18:19]
	v_add_f64 v[16:17], v[74:75], v[16:17]
	v_add_f64 v[18:19], v[18:19], -v[72:73]
	v_add_f64 v[20:21], v[20:21], -v[82:83]
	v_add_f64 v[22:23], v[80:81], v[22:23]
	v_add_f64 v[64:65], v[84:85], -v[70:71]
	v_add_f64 v[66:67], v[68:69], v[86:87]
	ds_write_b128 v222, v[0:3]
	ds_write_b128 v222, v[4:7] offset:528
	ds_write_b128 v222, v[8:11] offset:1056
	ds_write_b128 v222, v[12:15] offset:1584
	ds_write_b128 v222, v[16:19] offset:2112
	ds_write_b128 v222, v[20:23] offset:2640
	ds_write_b128 v222, v[64:67] offset:3168
	s_and_saveexec_b32 s0, s1
	s_cbranch_execz .LBB0_29
; %bb.28:
	s_clause 0xb
	buffer_load_dword v72, off, s[40:43], 0 offset:36
	buffer_load_dword v73, off, s[40:43], 0 offset:40
	;; [unrolled: 1-line block ×12, first 2 shown]
	v_mul_f64 v[2:3], v[34:35], v[60:61]
	v_mul_f64 v[6:7], v[30:31], v[56:57]
	;; [unrolled: 1-line block ×6, first 2 shown]
	v_fma_f64 v[2:3], v[32:33], v[62:63], -v[2:3]
	v_fma_f64 v[6:7], v[28:29], v[58:59], -v[6:7]
	v_fma_f64 v[8:9], v[32:33], v[60:61], v[8:9]
	v_fma_f64 v[12:13], v[28:29], v[56:57], v[12:13]
	;; [unrolled: 1-line block ×3, first 2 shown]
	v_fma_f64 v[20:21], v[24:25], v[54:55], -v[20:21]
	s_waitcnt vmcnt(10)
	v_mul_f64 v[0:1], v[42:43], v[72:73]
	s_waitcnt vmcnt(6)
	v_mul_f64 v[4:5], v[46:47], v[68:69]
	v_mul_f64 v[10:11], v[42:43], v[74:75]
	s_waitcnt vmcnt(4)
	v_mul_f64 v[14:15], v[46:47], v[70:71]
	s_waitcnt vmcnt(0)
	v_mul_f64 v[16:17], v[38:39], v[66:67]
	v_mul_f64 v[22:23], v[38:39], v[64:65]
	v_fma_f64 v[0:1], v[40:41], v[74:75], -v[0:1]
	v_fma_f64 v[4:5], v[44:45], v[70:71], -v[4:5]
	v_fma_f64 v[10:11], v[40:41], v[72:73], v[10:11]
	v_fma_f64 v[14:15], v[44:45], v[68:69], v[14:15]
	;; [unrolled: 1-line block ×3, first 2 shown]
	v_fma_f64 v[22:23], v[36:37], v[66:67], -v[22:23]
	v_add_f64 v[24:25], v[2:3], v[0:1]
	v_add_f64 v[26:27], v[6:7], v[4:5]
	;; [unrolled: 1-line block ×4, first 2 shown]
	v_add_f64 v[32:33], v[16:17], -v[18:19]
	v_add_f64 v[12:13], v[12:13], -v[14:15]
	v_add_f64 v[14:15], v[20:21], v[22:23]
	v_add_f64 v[16:17], v[18:19], v[16:17]
	v_add_f64 v[8:9], v[8:9], -v[10:11]
	v_add_f64 v[18:19], v[22:23], -v[20:21]
	v_add_f64 v[4:5], v[6:7], -v[4:5]
	v_add_f64 v[6:7], v[2:3], -v[0:1]
	v_add_f64 v[10:11], v[26:27], v[24:25]
	v_add_f64 v[0:1], v[30:31], v[28:29]
	v_add_f64 v[2:3], v[32:33], -v[12:13]
	v_add_f64 v[20:21], v[24:25], -v[14:15]
	;; [unrolled: 1-line block ×7, first 2 shown]
	v_add_f64 v[12:13], v[32:33], v[12:13]
	v_add_f64 v[4:5], v[18:19], v[4:5]
	v_add_f64 v[18:19], v[6:7], -v[18:19]
	v_add_f64 v[24:25], v[26:27], -v[24:25]
	;; [unrolled: 1-line block ×3, first 2 shown]
	v_add_f64 v[10:11], v[14:15], v[10:11]
	v_add_f64 v[14:15], v[14:15], -v[26:27]
	v_add_f64 v[40:41], v[16:17], v[0:1]
	v_add_f64 v[16:17], v[16:17], -v[30:31]
	v_mul_f64 v[32:33], v[2:3], s[16:17]
	v_mul_f64 v[20:21], v[20:21], s[12:13]
	;; [unrolled: 1-line block ×6, first 2 shown]
	v_add_f64 v[8:9], v[12:13], v[8:9]
	v_add_f64 v[4:5], v[4:5], v[6:7]
	;; [unrolled: 1-line block ×3, first 2 shown]
	v_mul_f64 v[26:27], v[14:15], s[4:5]
	v_add_f64 v[0:1], v[48:49], v[40:41]
	v_mul_f64 v[30:31], v[16:17], s[4:5]
	v_fma_f64 v[6:7], v[42:43], s[22:23], v[32:33]
	v_fma_f64 v[12:13], v[14:15], s[4:5], v[20:21]
	v_fma_f64 v[14:15], v[16:17], s[4:5], v[22:23]
	v_fma_f64 v[16:17], v[42:43], s[24:25], -v[44:45]
	v_fma_f64 v[32:33], v[34:35], s[2:3], -v[32:33]
	;; [unrolled: 1-line block ×5, first 2 shown]
	v_fma_f64 v[10:11], v[10:11], s[14:15], v[2:3]
	v_fma_f64 v[24:25], v[24:25], s[18:19], -v[26:27]
	v_fma_f64 v[26:27], v[18:19], s[22:23], v[36:37]
	v_fma_f64 v[18:19], v[18:19], s[24:25], -v[46:47]
	;; [unrolled: 2-line block ×3, first 2 shown]
	v_fma_f64 v[30:31], v[8:9], s[26:27], v[6:7]
	v_fma_f64 v[16:17], v[8:9], s[26:27], v[16:17]
	;; [unrolled: 1-line block ×3, first 2 shown]
	v_add_f64 v[12:13], v[12:13], v[10:11]
	v_add_f64 v[20:21], v[20:21], v[10:11]
	v_fma_f64 v[32:33], v[4:5], s[26:27], v[26:27]
	v_fma_f64 v[38:39], v[4:5], s[26:27], v[18:19]
	;; [unrolled: 1-line block ×3, first 2 shown]
	v_add_f64 v[28:29], v[28:29], v[36:37]
	v_add_f64 v[24:25], v[24:25], v[10:11]
	;; [unrolled: 1-line block ×6, first 2 shown]
	v_add_f64 v[22:23], v[20:21], -v[16:17]
	v_add_f64 v[26:27], v[12:13], -v[30:31]
	;; [unrolled: 1-line block ×3, first 2 shown]
	v_add_f64 v[12:13], v[4:5], v[28:29]
	buffer_load_dword v29, off, s[40:43], 0 offset:164 ; 4-byte Folded Reload
	v_add_f64 v[14:15], v[24:25], -v[8:9]
	v_add_f64 v[18:19], v[8:9], v[24:25]
	v_add_f64 v[24:25], v[32:33], v[34:35]
	;; [unrolled: 1-line block ×3, first 2 shown]
	v_add_f64 v[8:9], v[40:41], -v[38:39]
	v_add_f64 v[4:5], v[34:35], -v[32:33]
	v_mov_b32_e32 v28, 4
	s_waitcnt vmcnt(0)
	v_lshlrev_b32_sdwa v28, v28, v29 dst_sel:DWORD dst_unused:UNUSED_PAD src0_sel:DWORD src1_sel:WORD_0
	ds_write_b128 v28, v[0:3] offset:25872
	ds_write_b128 v28, v[24:27] offset:26400
	;; [unrolled: 1-line block ×7, first 2 shown]
.LBB0_29:
	s_or_b32 exec_lo, exec_lo, s0
	s_waitcnt lgkmcnt(0)
	s_barrier
	buffer_gl0_inv
	ds_read_b128 v[0:3], v255 offset:7392
	ds_read_b128 v[4:7], v255 offset:14784
	ds_read_b128 v[8:11], v255 offset:22176
	ds_read_b128 v[12:15], v255 offset:11088
	ds_read_b128 v[16:19], v255 offset:18480
	ds_read_b128 v[20:23], v255 offset:25872
	ds_read_b128 v[24:27], v255
	ds_read_b128 v[28:31], v255 offset:3696
	s_waitcnt lgkmcnt(0)
	s_barrier
	buffer_gl0_inv
	s_mul_i32 s0, s9, 0x268
	s_mul_hi_u32 s1, s8, 0x268
	s_mul_i32 s4, s8, 0x268
	s_add_i32 s5, s1, s0
	s_mov_b32 s2, 0x4046ed29
	s_lshl_b64 s[4:5], s[4:5], 4
	s_mul_hi_u32 s12, s8, 0xfffffc17
	s_mov_b32 s3, 0x3f41bb4a
	s_sub_i32 s1, s12, s8
	v_mul_f64 v[32:33], v[114:115], v[2:3]
	v_mul_f64 v[34:35], v[114:115], v[0:1]
	;; [unrolled: 1-line block ×12, first 2 shown]
	v_fma_f64 v[0:1], v[112:113], v[0:1], v[32:33]
	v_fma_f64 v[2:3], v[112:113], v[2:3], -v[34:35]
	v_fma_f64 v[4:5], v[120:121], v[4:5], v[36:37]
	v_fma_f64 v[6:7], v[120:121], v[6:7], -v[38:39]
	;; [unrolled: 2-line block ×6, first 2 shown]
	v_add_f64 v[32:33], v[24:25], -v[4:5]
	v_add_f64 v[34:35], v[26:27], -v[6:7]
	;; [unrolled: 1-line block ×8, first 2 shown]
	v_fma_f64 v[24:25], v[24:25], 2.0, -v[32:33]
	v_fma_f64 v[26:27], v[26:27], 2.0, -v[34:35]
	v_fma_f64 v[16:17], v[0:1], 2.0, -v[4:5]
	v_fma_f64 v[18:19], v[2:3], 2.0, -v[6:7]
	v_add_f64 v[0:1], v[32:33], v[6:7]
	v_add_f64 v[2:3], v[34:35], -v[4:5]
	v_fma_f64 v[28:29], v[28:29], 2.0, -v[36:37]
	v_fma_f64 v[30:31], v[30:31], 2.0, -v[38:39]
	;; [unrolled: 1-line block ×4, first 2 shown]
	v_add_f64 v[4:5], v[36:37], v[10:11]
	v_add_f64 v[6:7], v[38:39], -v[8:9]
	v_add_f64 v[8:9], v[24:25], -v[16:17]
	;; [unrolled: 1-line block ×3, first 2 shown]
	v_fma_f64 v[16:17], v[32:33], 2.0, -v[0:1]
	v_fma_f64 v[18:19], v[34:35], 2.0, -v[2:3]
	v_add_f64 v[12:13], v[28:29], -v[12:13]
	v_add_f64 v[14:15], v[30:31], -v[14:15]
	v_fma_f64 v[20:21], v[36:37], 2.0, -v[4:5]
	v_fma_f64 v[22:23], v[38:39], 2.0, -v[6:7]
	v_fma_f64 v[24:25], v[24:25], 2.0, -v[8:9]
	v_fma_f64 v[26:27], v[26:27], 2.0, -v[10:11]
	v_fma_f64 v[28:29], v[28:29], 2.0, -v[12:13]
	v_fma_f64 v[30:31], v[30:31], 2.0, -v[14:15]
	ds_write_b128 v255, v[0:3] offset:11088
	ds_write_b128 v255, v[4:7] offset:25872
	;; [unrolled: 1-line block ×6, first 2 shown]
	ds_write_b128 v255, v[24:27]
	ds_write_b128 v255, v[28:31] offset:14784
	s_waitcnt lgkmcnt(0)
	s_barrier
	buffer_gl0_inv
	ds_read_b128 v[0:3], v255 offset:14784
	ds_read_b128 v[4:7], v255 offset:18480
	;; [unrolled: 1-line block ×4, first 2 shown]
	ds_read_b128 v[16:19], v255
	ds_read_b128 v[20:23], v255 offset:3696
	s_waitcnt lgkmcnt(5)
	v_mul_f64 v[24:25], v[126:127], v[2:3]
	v_mul_f64 v[26:27], v[126:127], v[0:1]
	s_waitcnt lgkmcnt(4)
	v_mul_f64 v[28:29], v[138:139], v[6:7]
	v_mul_f64 v[30:31], v[138:139], v[4:5]
	;; [unrolled: 3-line block ×4, first 2 shown]
	v_fma_f64 v[24:25], v[124:125], v[0:1], v[24:25]
	v_fma_f64 v[26:27], v[124:125], v[2:3], -v[26:27]
	v_fma_f64 v[28:29], v[136:137], v[4:5], v[28:29]
	v_fma_f64 v[30:31], v[136:137], v[6:7], -v[30:31]
	;; [unrolled: 2-line block ×4, first 2 shown]
	ds_read_b128 v[0:3], v255 offset:7392
	ds_read_b128 v[4:7], v255 offset:11088
	s_waitcnt lgkmcnt(3)
	v_add_f64 v[8:9], v[16:17], -v[24:25]
	v_add_f64 v[10:11], v[18:19], -v[26:27]
	s_waitcnt lgkmcnt(2)
	v_add_f64 v[12:13], v[20:21], -v[28:29]
	v_add_f64 v[14:15], v[22:23], -v[30:31]
	;; [unrolled: 3-line block ×4, first 2 shown]
	s_clause 0x1
	buffer_load_dword v32, off, s[40:43], 0 offset:52
	buffer_load_dword v33, off, s[40:43], 0 offset:56
	v_fma_f64 v[16:17], v[16:17], 2.0, -v[8:9]
	v_fma_f64 v[18:19], v[18:19], 2.0, -v[10:11]
	;; [unrolled: 1-line block ×8, first 2 shown]
	ds_write_b128 v255, v[8:11] offset:14784
	ds_write_b128 v255, v[12:15] offset:18480
	;; [unrolled: 1-line block ×4, first 2 shown]
	ds_write_b128 v255, v[16:19]
	ds_write_b128 v255, v[20:23] offset:3696
	ds_write_b128 v255, v[0:3] offset:7392
	;; [unrolled: 1-line block ×3, first 2 shown]
	s_waitcnt vmcnt(0) lgkmcnt(0)
	s_barrier
	buffer_gl0_inv
	ds_read_b128 v[0:3], v255
	ds_read_b128 v[4:7], v255 offset:9856
	ds_read_b128 v[8:11], v255 offset:19712
	;; [unrolled: 1-line block ×5, first 2 shown]
	s_clause 0x7
	buffer_load_dword v56, off, s[40:43], 0 offset:60
	buffer_load_dword v57, off, s[40:43], 0 offset:64
	;; [unrolled: 1-line block ×8, first 2 shown]
	v_mad_u64_u32 v[24:25], null, s8, v150, 0
	v_mov_b32_e32 v34, v32
	v_mad_u64_u32 v[32:33], null, s10, v34, 0
	s_mul_i32 s10, s8, 0xfffffc17
	v_mov_b32_e32 v26, v33
	v_mad_u64_u32 v[26:27], null, s11, v34, v[26:27]
	s_mul_i32 s11, s9, 0xfffffc17
	s_add_i32 s11, s1, s11
	v_mad_u64_u32 v[27:28], null, s9, v150, v[25:26]
	v_mov_b32_e32 v33, v26
	v_mov_b32_e32 v25, v27
	v_lshlrev_b64 v[26:27], 4, v[32:33]
	v_lshlrev_b64 v[24:25], 4, v[24:25]
	v_add_co_u32 v54, s0, s6, v26
	v_add_co_ci_u32_e64 v55, s0, s7, v27, s0
	s_waitcnt vmcnt(0) lgkmcnt(4)
	v_mul_f64 v[34:35], v[64:65], v[6:7]
	v_mul_f64 v[36:37], v[64:65], v[4:5]
	s_clause 0x3
	buffer_load_dword v64, off, s[40:43], 0 offset:108
	buffer_load_dword v65, off, s[40:43], 0 offset:112
	;; [unrolled: 1-line block ×4, first 2 shown]
	v_mul_f64 v[28:29], v[58:59], v[2:3]
	v_mul_f64 v[30:31], v[58:59], v[0:1]
	s_clause 0x3
	buffer_load_dword v58, off, s[40:43], 0 offset:76
	buffer_load_dword v59, off, s[40:43], 0 offset:80
	;; [unrolled: 1-line block ×4, first 2 shown]
	s_lshl_b64 s[6:7], s[10:11], 4
	v_fma_f64 v[0:1], v[56:57], v[0:1], v[28:29]
	v_fma_f64 v[26:27], v[56:57], v[2:3], -v[30:31]
	v_fma_f64 v[28:29], v[62:63], v[4:5], v[34:35]
	v_fma_f64 v[30:31], v[62:63], v[6:7], -v[36:37]
	v_mul_f64 v[2:3], v[0:1], s[2:3]
	v_mul_f64 v[4:5], v[26:27], s[2:3]
	v_mul_f64 v[6:7], v[28:29], s[2:3]
	s_waitcnt vmcnt(4) lgkmcnt(3)
	v_mul_f64 v[38:39], v[66:67], v[10:11]
	v_mul_f64 v[40:41], v[66:67], v[8:9]
	s_clause 0x3
	buffer_load_dword v66, off, s[40:43], 0 offset:124
	buffer_load_dword v67, off, s[40:43], 0 offset:128
	;; [unrolled: 1-line block ×4, first 2 shown]
	s_waitcnt vmcnt(4) lgkmcnt(2)
	v_mul_f64 v[42:43], v[60:61], v[14:15]
	v_mul_f64 v[44:45], v[60:61], v[12:13]
	v_fma_f64 v[32:33], v[64:65], v[8:9], v[38:39]
	v_fma_f64 v[34:35], v[64:65], v[10:11], -v[40:41]
	v_mul_f64 v[8:9], v[30:31], s[2:3]
	v_fma_f64 v[36:37], v[58:59], v[12:13], v[42:43]
	v_fma_f64 v[38:39], v[58:59], v[14:15], -v[44:45]
	v_mul_f64 v[10:11], v[32:33], s[2:3]
	v_mul_f64 v[12:13], v[34:35], s[2:3]
	;; [unrolled: 1-line block ×3, first 2 shown]
	s_waitcnt vmcnt(0) lgkmcnt(1)
	v_mul_f64 v[46:47], v[68:69], v[18:19]
	v_mul_f64 v[48:49], v[68:69], v[16:17]
	s_clause 0x3
	buffer_load_dword v68, off, s[40:43], 0 offset:140
	buffer_load_dword v69, off, s[40:43], 0 offset:144
	;; [unrolled: 1-line block ×4, first 2 shown]
	v_fma_f64 v[40:41], v[66:67], v[16:17], v[46:47]
	v_fma_f64 v[42:43], v[66:67], v[18:19], -v[48:49]
	v_add_co_u32 v48, s0, v54, v24
	v_add_co_ci_u32_e64 v49, s0, v55, v25, s0
	v_mul_f64 v[16:17], v[38:39], s[2:3]
	v_mul_f64 v[18:19], v[40:41], s[2:3]
	s_waitcnt vmcnt(0) lgkmcnt(0)
	v_mul_f64 v[50:51], v[70:71], v[22:23]
	v_mul_f64 v[52:53], v[70:71], v[20:21]
	v_fma_f64 v[44:45], v[68:69], v[20:21], v[50:51]
	v_fma_f64 v[46:47], v[68:69], v[22:23], -v[52:53]
	v_add_co_u32 v50, s0, v48, s4
	v_add_co_ci_u32_e64 v51, s0, s5, v49, s0
	v_mul_f64 v[20:21], v[42:43], s[2:3]
	v_add_co_u32 v26, s0, v50, s4
	v_add_co_ci_u32_e64 v27, s0, s5, v51, s0
	v_add_co_u32 v28, s0, v26, s6
	v_add_co_ci_u32_e64 v29, s0, s7, v27, s0
	;; [unrolled: 2-line block ×3, first 2 shown]
	v_mul_f64 v[22:23], v[44:45], s[2:3]
	v_mul_f64 v[24:25], v[46:47], s[2:3]
	v_add_co_u32 v0, s0, v30, s4
	v_add_co_ci_u32_e64 v1, s0, s5, v31, s0
	global_store_dwordx4 v[48:49], v[2:5], off
	global_store_dwordx4 v[50:51], v[6:9], off
	;; [unrolled: 1-line block ×6, first 2 shown]
	s_and_b32 exec_lo, exec_lo, vcc_lo
	s_cbranch_execz .LBB0_31
; %bb.30:
	v_add_co_u32 v2, vcc_lo, 0x1800, v196
	v_add_co_ci_u32_e32 v3, vcc_lo, 0, v221, vcc_lo
	v_add_co_u32 v6, vcc_lo, 0x4000, v196
	v_add_co_ci_u32_e32 v7, vcc_lo, 0, v221, vcc_lo
	;; [unrolled: 2-line block ×3, first 2 shown]
	s_clause 0x2
	global_load_dwordx4 v[2:5], v[2:3], off offset:1248
	global_load_dwordx4 v[6:9], v[6:7], off offset:864
	;; [unrolled: 1-line block ×3, first 2 shown]
	ds_read_b128 v[14:17], v255 offset:7392
	ds_read_b128 v[18:21], v255 offset:17248
	;; [unrolled: 1-line block ×3, first 2 shown]
	v_add_co_u32 v0, vcc_lo, v0, s6
	v_add_co_ci_u32_e32 v1, vcc_lo, s7, v1, vcc_lo
	s_waitcnt vmcnt(2) lgkmcnt(2)
	v_mul_f64 v[26:27], v[16:17], v[4:5]
	v_mul_f64 v[4:5], v[14:15], v[4:5]
	s_waitcnt vmcnt(1) lgkmcnt(1)
	v_mul_f64 v[28:29], v[20:21], v[8:9]
	v_mul_f64 v[8:9], v[18:19], v[8:9]
	;; [unrolled: 3-line block ×3, first 2 shown]
	v_fma_f64 v[14:15], v[14:15], v[2:3], v[26:27]
	v_fma_f64 v[4:5], v[2:3], v[16:17], -v[4:5]
	v_fma_f64 v[16:17], v[18:19], v[6:7], v[28:29]
	v_fma_f64 v[8:9], v[6:7], v[20:21], -v[8:9]
	;; [unrolled: 2-line block ×3, first 2 shown]
	v_mul_f64 v[2:3], v[14:15], s[2:3]
	v_mul_f64 v[4:5], v[4:5], s[2:3]
	;; [unrolled: 1-line block ×6, first 2 shown]
	v_add_co_u32 v14, vcc_lo, v0, s4
	v_add_co_ci_u32_e32 v15, vcc_lo, s5, v1, vcc_lo
	v_add_co_u32 v16, vcc_lo, v14, s4
	v_add_co_ci_u32_e32 v17, vcc_lo, s5, v15, vcc_lo
	global_store_dwordx4 v[0:1], v[2:5], off
	global_store_dwordx4 v[14:15], v[6:9], off
	;; [unrolled: 1-line block ×3, first 2 shown]
.LBB0_31:
	s_endpgm
	.section	.rodata,"a",@progbits
	.p2align	6, 0x0
	.amdhsa_kernel bluestein_single_back_len1848_dim1_dp_op_CI_CI
		.amdhsa_group_segment_fixed_size 29568
		.amdhsa_private_segment_fixed_size 204
		.amdhsa_kernarg_size 104
		.amdhsa_user_sgpr_count 6
		.amdhsa_user_sgpr_private_segment_buffer 1
		.amdhsa_user_sgpr_dispatch_ptr 0
		.amdhsa_user_sgpr_queue_ptr 0
		.amdhsa_user_sgpr_kernarg_segment_ptr 1
		.amdhsa_user_sgpr_dispatch_id 0
		.amdhsa_user_sgpr_flat_scratch_init 0
		.amdhsa_user_sgpr_private_segment_size 0
		.amdhsa_wavefront_size32 1
		.amdhsa_uses_dynamic_stack 0
		.amdhsa_system_sgpr_private_segment_wavefront_offset 1
		.amdhsa_system_sgpr_workgroup_id_x 1
		.amdhsa_system_sgpr_workgroup_id_y 0
		.amdhsa_system_sgpr_workgroup_id_z 0
		.amdhsa_system_sgpr_workgroup_info 0
		.amdhsa_system_vgpr_workitem_id 0
		.amdhsa_next_free_vgpr 256
		.amdhsa_next_free_sgpr 44
		.amdhsa_reserve_vcc 1
		.amdhsa_reserve_flat_scratch 0
		.amdhsa_float_round_mode_32 0
		.amdhsa_float_round_mode_16_64 0
		.amdhsa_float_denorm_mode_32 3
		.amdhsa_float_denorm_mode_16_64 3
		.amdhsa_dx10_clamp 1
		.amdhsa_ieee_mode 1
		.amdhsa_fp16_overflow 0
		.amdhsa_workgroup_processor_mode 1
		.amdhsa_memory_ordered 1
		.amdhsa_forward_progress 0
		.amdhsa_shared_vgpr_count 0
		.amdhsa_exception_fp_ieee_invalid_op 0
		.amdhsa_exception_fp_denorm_src 0
		.amdhsa_exception_fp_ieee_div_zero 0
		.amdhsa_exception_fp_ieee_overflow 0
		.amdhsa_exception_fp_ieee_underflow 0
		.amdhsa_exception_fp_ieee_inexact 0
		.amdhsa_exception_int_div_zero 0
	.end_amdhsa_kernel
	.text
.Lfunc_end0:
	.size	bluestein_single_back_len1848_dim1_dp_op_CI_CI, .Lfunc_end0-bluestein_single_back_len1848_dim1_dp_op_CI_CI
                                        ; -- End function
	.section	.AMDGPU.csdata,"",@progbits
; Kernel info:
; codeLenInByte = 19204
; NumSgprs: 46
; NumVgprs: 256
; ScratchSize: 204
; MemoryBound: 0
; FloatMode: 240
; IeeeMode: 1
; LDSByteSize: 29568 bytes/workgroup (compile time only)
; SGPRBlocks: 5
; VGPRBlocks: 31
; NumSGPRsForWavesPerEU: 46
; NumVGPRsForWavesPerEU: 256
; Occupancy: 4
; WaveLimiterHint : 1
; COMPUTE_PGM_RSRC2:SCRATCH_EN: 1
; COMPUTE_PGM_RSRC2:USER_SGPR: 6
; COMPUTE_PGM_RSRC2:TRAP_HANDLER: 0
; COMPUTE_PGM_RSRC2:TGID_X_EN: 1
; COMPUTE_PGM_RSRC2:TGID_Y_EN: 0
; COMPUTE_PGM_RSRC2:TGID_Z_EN: 0
; COMPUTE_PGM_RSRC2:TIDIG_COMP_CNT: 0
	.text
	.p2alignl 6, 3214868480
	.fill 48, 4, 3214868480
	.type	__hip_cuid_912253a895bcbd6c,@object ; @__hip_cuid_912253a895bcbd6c
	.section	.bss,"aw",@nobits
	.globl	__hip_cuid_912253a895bcbd6c
__hip_cuid_912253a895bcbd6c:
	.byte	0                               ; 0x0
	.size	__hip_cuid_912253a895bcbd6c, 1

	.ident	"AMD clang version 19.0.0git (https://github.com/RadeonOpenCompute/llvm-project roc-6.4.0 25133 c7fe45cf4b819c5991fe208aaa96edf142730f1d)"
	.section	".note.GNU-stack","",@progbits
	.addrsig
	.addrsig_sym __hip_cuid_912253a895bcbd6c
	.amdgpu_metadata
---
amdhsa.kernels:
  - .args:
      - .actual_access:  read_only
        .address_space:  global
        .offset:         0
        .size:           8
        .value_kind:     global_buffer
      - .actual_access:  read_only
        .address_space:  global
        .offset:         8
        .size:           8
        .value_kind:     global_buffer
      - .actual_access:  read_only
        .address_space:  global
        .offset:         16
        .size:           8
        .value_kind:     global_buffer
      - .actual_access:  read_only
        .address_space:  global
        .offset:         24
        .size:           8
        .value_kind:     global_buffer
      - .actual_access:  read_only
        .address_space:  global
        .offset:         32
        .size:           8
        .value_kind:     global_buffer
      - .offset:         40
        .size:           8
        .value_kind:     by_value
      - .address_space:  global
        .offset:         48
        .size:           8
        .value_kind:     global_buffer
      - .address_space:  global
        .offset:         56
        .size:           8
        .value_kind:     global_buffer
      - .address_space:  global
        .offset:         64
        .size:           8
        .value_kind:     global_buffer
      - .address_space:  global
        .offset:         72
        .size:           8
        .value_kind:     global_buffer
      - .offset:         80
        .size:           4
        .value_kind:     by_value
      - .address_space:  global
        .offset:         88
        .size:           8
        .value_kind:     global_buffer
      - .address_space:  global
        .offset:         96
        .size:           8
        .value_kind:     global_buffer
    .group_segment_fixed_size: 29568
    .kernarg_segment_align: 8
    .kernarg_segment_size: 104
    .language:       OpenCL C
    .language_version:
      - 2
      - 0
    .max_flat_workgroup_size: 231
    .name:           bluestein_single_back_len1848_dim1_dp_op_CI_CI
    .private_segment_fixed_size: 204
    .sgpr_count:     46
    .sgpr_spill_count: 0
    .symbol:         bluestein_single_back_len1848_dim1_dp_op_CI_CI.kd
    .uniform_work_group_size: 1
    .uses_dynamic_stack: false
    .vgpr_count:     256
    .vgpr_spill_count: 62
    .wavefront_size: 32
    .workgroup_processor_mode: 1
amdhsa.target:   amdgcn-amd-amdhsa--gfx1030
amdhsa.version:
  - 1
  - 2
...

	.end_amdgpu_metadata
